;; amdgpu-corpus repo=ROCm/rocFFT kind=compiled arch=gfx950 opt=O3
	.text
	.amdgcn_target "amdgcn-amd-amdhsa--gfx950"
	.amdhsa_code_object_version 6
	.protected	bluestein_single_fwd_len242_dim1_sp_op_CI_CI ; -- Begin function bluestein_single_fwd_len242_dim1_sp_op_CI_CI
	.globl	bluestein_single_fwd_len242_dim1_sp_op_CI_CI
	.p2align	8
	.type	bluestein_single_fwd_len242_dim1_sp_op_CI_CI,@function
bluestein_single_fwd_len242_dim1_sp_op_CI_CI: ; @bluestein_single_fwd_len242_dim1_sp_op_CI_CI
; %bb.0:
	s_load_dwordx4 s[16:19], s[0:1], 0x28
	v_mul_u32_u24_e32 v1, 0xba3, v0
	v_lshrrev_b32_e32 v2, 16, v1
	v_mad_u64_u32 v[54:55], s[2:3], s2, 5, v[2:3]
	v_mov_b32_e32 v49, 0
	v_mov_b32_e32 v55, v49
	s_waitcnt lgkmcnt(0)
	v_cmp_gt_u64_e32 vcc, s[16:17], v[54:55]
	s_and_saveexec_b64 s[2:3], vcc
	s_cbranch_execz .LBB0_10
; %bb.1:
	s_load_dwordx4 s[4:7], s[0:1], 0x18
	s_load_dwordx4 s[8:11], s[0:1], 0x0
	v_mul_lo_u16_e32 v1, 22, v2
	v_sub_u16_e32 v48, v0, v1
	v_mov_b32_e32 v4, s18
	s_waitcnt lgkmcnt(0)
	s_load_dwordx4 s[12:15], s[4:5], 0x0
	v_mov_b32_e32 v5, s19
	v_mov_b32_e32 v22, 0xb0
	v_lshlrev_b32_e32 v28, 3, v48
	s_mov_b32 s22, 0xbf0a6770
	s_waitcnt lgkmcnt(0)
	v_mad_u64_u32 v[0:1], s[2:3], s14, v54, 0
	v_mov_b32_e32 v2, v1
	v_mad_u64_u32 v[2:3], s[2:3], s15, v54, v[2:3]
	v_mov_b32_e32 v1, v2
	;; [unrolled: 2-line block ×4, first 2 shown]
	v_lshl_add_u64 v[0:1], v[0:1], 3, v[4:5]
	v_lshl_add_u64 v[0:1], v[2:3], 3, v[0:1]
	global_load_dwordx2 v[2:3], v[0:1], off
	v_mad_u64_u32 v[0:1], s[2:3], s12, v22, v[0:1]
	s_mul_i32 s4, s13, 0xb0
	v_add_u32_e32 v1, s4, v1
	global_load_dwordx2 v[4:5], v[0:1], off
	global_load_dwordx2 v[68:69], v28, s[8:9]
	v_mad_u64_u32 v[0:1], s[2:3], s12, v22, v[0:1]
	v_add_u32_e32 v1, s4, v1
	v_mad_u64_u32 v[6:7], s[2:3], s12, v22, v[0:1]
	v_add_u32_e32 v7, s4, v7
	global_load_dwordx2 v[66:67], v28, s[8:9] offset:176
	global_load_dwordx2 v[64:65], v28, s[8:9] offset:352
	;; [unrolled: 1-line block ×3, first 2 shown]
	global_load_dwordx2 v[8:9], v[0:1], off
	v_mad_u64_u32 v[0:1], s[2:3], s12, v22, v[6:7]
	v_add_u32_e32 v1, s4, v1
	global_load_dwordx2 v[10:11], v[6:7], off
	global_load_dwordx2 v[12:13], v[0:1], off
	v_mad_u64_u32 v[0:1], s[2:3], s12, v22, v[0:1]
	v_add_u32_e32 v1, s4, v1
	global_load_dwordx2 v[62:63], v28, s[8:9] offset:704
	global_load_dwordx2 v[6:7], v[0:1], off
	v_mad_u64_u32 v[0:1], s[2:3], s12, v22, v[0:1]
	v_add_u32_e32 v1, s4, v1
	global_load_dwordx2 v[14:15], v[0:1], off
	v_mad_u64_u32 v[0:1], s[2:3], s12, v22, v[0:1]
	v_add_u32_e32 v1, s4, v1
	global_load_dwordx2 v[60:61], v28, s[8:9] offset:880
	global_load_dwordx2 v[56:57], v28, s[8:9] offset:1056
	global_load_dwordx2 v[16:17], v[0:1], off
	global_load_dwordx2 v[52:53], v28, s[8:9] offset:1232
	v_mad_u64_u32 v[0:1], s[2:3], s12, v22, v[0:1]
	v_add_u32_e32 v1, s4, v1
	global_load_dwordx2 v[18:19], v[0:1], off
	global_load_dwordx2 v[50:51], v28, s[8:9] offset:1408
	v_mad_u64_u32 v[0:1], s[2:3], s12, v22, v[0:1]
	v_add_u32_e32 v1, s4, v1
	global_load_dwordx2 v[20:21], v[0:1], off
	global_load_dwordx2 v[46:47], v28, s[8:9] offset:1584
	v_mad_u64_u32 v[0:1], s[2:3], s12, v22, v[0:1]
	v_add_u32_e32 v1, s4, v1
	global_load_dwordx2 v[44:45], v28, s[8:9] offset:1760
	global_load_dwordx2 v[22:23], v[0:1], off
	s_mov_b32 s2, 0xcccccccd
	v_mul_hi_u32 v0, v54, s2
	v_lshrrev_b32_e32 v0, 2, v0
	v_lshl_add_u32 v0, v0, 2, v0
	v_sub_u32_e32 v0, v54, v0
	v_mul_u32_u24_e32 v0, 0xf2, v0
	v_lshlrev_b32_e32 v110, 3, v0
	v_add_u32_e32 v55, v28, v110
	s_load_dwordx4 s[4:7], s[6:7], 0x0
	s_mov_b32 s12, 0x3f575c64
	s_mov_b32 s28, 0xbf68dda4
	;; [unrolled: 1-line block ×11, first 2 shown]
	v_mov_b32_e32 v29, v49
	v_cmp_gt_u16_e32 vcc, 11, v48
	s_waitcnt vmcnt(19)
	v_mul_f32_e32 v0, v3, v69
	v_mul_f32_e32 v1, v2, v69
	v_fmac_f32_e32 v0, v2, v68
	v_fma_f32 v1, v3, v68, -v1
	s_waitcnt vmcnt(18)
	v_mul_f32_e32 v2, v5, v67
	v_mul_f32_e32 v3, v4, v67
	v_fmac_f32_e32 v2, v4, v66
	v_fma_f32 v3, v5, v66, -v3
	ds_write2_b64 v55, v[0:1], v[2:3] offset1:22
	s_waitcnt vmcnt(15)
	v_mul_f32_e32 v0, v9, v65
	v_mul_f32_e32 v1, v8, v65
	s_waitcnt vmcnt(14)
	v_mul_f32_e32 v2, v11, v59
	v_mul_f32_e32 v3, v10, v59
	v_fmac_f32_e32 v0, v8, v64
	v_fma_f32 v1, v9, v64, -v1
	v_fmac_f32_e32 v2, v10, v58
	v_fma_f32 v3, v11, v58, -v3
	ds_write2_b64 v55, v[0:1], v[2:3] offset0:44 offset1:66
	s_waitcnt vmcnt(12)
	v_mul_f32_e32 v0, v13, v63
	v_mul_f32_e32 v1, v12, v63
	v_fmac_f32_e32 v0, v12, v62
	s_waitcnt vmcnt(9)
	v_mul_f32_e32 v2, v7, v61
	v_mul_f32_e32 v3, v6, v61
	v_fma_f32 v1, v13, v62, -v1
	v_fmac_f32_e32 v2, v6, v60
	v_fma_f32 v3, v7, v60, -v3
	ds_write2_b64 v55, v[0:1], v[2:3] offset0:88 offset1:110
	s_waitcnt vmcnt(8)
	v_mul_f32_e32 v0, v15, v57
	v_mul_f32_e32 v1, v14, v57
	s_waitcnt vmcnt(6)
	v_mul_f32_e32 v2, v17, v53
	v_mul_f32_e32 v3, v16, v53
	v_fmac_f32_e32 v0, v14, v56
	v_fma_f32 v1, v15, v56, -v1
	v_fmac_f32_e32 v2, v16, v52
	v_fma_f32 v3, v17, v52, -v3
	ds_write2_b64 v55, v[0:1], v[2:3] offset0:132 offset1:154
	s_waitcnt vmcnt(4)
	v_mul_f32_e32 v0, v19, v51
	v_mul_f32_e32 v1, v18, v51
	s_waitcnt vmcnt(2)
	v_mul_f32_e32 v2, v21, v47
	v_mul_f32_e32 v3, v20, v47
	v_fmac_f32_e32 v0, v18, v50
	v_fma_f32 v1, v19, v50, -v1
	v_fmac_f32_e32 v2, v20, v46
	v_fma_f32 v3, v21, v46, -v3
	ds_write2_b64 v55, v[0:1], v[2:3] offset0:176 offset1:198
	s_waitcnt vmcnt(0)
	v_mul_f32_e32 v0, v23, v45
	v_mul_f32_e32 v1, v22, v45
	v_fmac_f32_e32 v0, v22, v44
	v_fma_f32 v1, v23, v44, -v1
	ds_write_b64 v55, v[0:1] offset:1760
	s_waitcnt lgkmcnt(0)
	s_barrier
	ds_read2_b64 v[4:7], v55 offset0:88 offset1:110
	ds_read2_b64 v[8:11], v55 offset0:132 offset1:154
	ds_read2_b64 v[0:3], v55 offset1:22
	ds_read2_b64 v[12:15], v55 offset0:44 offset1:66
	ds_read2_b64 v[16:19], v55 offset0:176 offset1:198
	ds_read_b64 v[20:21], v55 offset:1760
	s_waitcnt lgkmcnt(4)
	v_pk_add_f32 v[22:23], v[10:11], v[4:5]
	s_waitcnt lgkmcnt(3)
	v_pk_add_f32 v[30:31], v[0:1], v[2:3]
	v_pk_add_f32 v[24:25], v[4:5], v[10:11] neg_lo:[0,1] neg_hi:[0,1]
	s_waitcnt lgkmcnt(2)
	v_pk_add_f32 v[30:31], v[30:31], v[12:13]
	v_pk_add_f32 v[26:27], v[8:9], v[6:7]
	;; [unrolled: 1-line block ×3, first 2 shown]
	s_waitcnt lgkmcnt(0)
	v_pk_add_f32 v[4:5], v[30:31], v[4:5]
	v_pk_add_f32 v[30:31], v[18:19], v[12:13]
	;; [unrolled: 1-line block ×3, first 2 shown]
	v_pk_add_f32 v[6:7], v[6:7], v[8:9] neg_lo:[0,1] neg_hi:[0,1]
	v_pk_add_f32 v[4:5], v[4:5], v[8:9]
	v_pk_add_f32 v[8:9], v[12:13], v[18:19] neg_lo:[0,1] neg_hi:[0,1]
	v_pk_add_f32 v[4:5], v[4:5], v[10:11]
	v_pk_add_f32 v[10:11], v[16:17], v[14:15]
	v_pk_add_f32 v[12:13], v[14:15], v[16:17] neg_lo:[0,1] neg_hi:[0,1]
	v_pk_add_f32 v[14:15], v[20:21], v[2:3]
	;; [unrolled: 3-line block ×3, first 2 shown]
	v_pk_mul_f32 v[16:17], v[2:3], s[22:23] op_sel_hi:[1,0]
	v_pk_add_f32 v[4:5], v[4:5], v[20:21]
	v_pk_fma_f32 v[18:19], v[14:15], s[12:13], v[16:17] op_sel:[0,0,1] op_sel_hi:[1,0,0]
	v_pk_fma_f32 v[16:17], v[14:15], s[12:13], v[16:17] op_sel:[0,0,1] op_sel_hi:[1,0,0] neg_lo:[0,0,1] neg_hi:[0,0,1]
	v_pk_mul_f32 v[20:21], v[8:9], s[28:29] op_sel_hi:[1,0]
	v_mov_b32_e32 v35, v17
	v_pk_fma_f32 v[32:33], v[30:31], s[2:3], v[20:21] op_sel:[0,0,1] op_sel_hi:[1,0,0]
	v_pk_fma_f32 v[20:21], v[30:31], s[2:3], v[20:21] op_sel:[0,0,1] op_sel_hi:[1,0,0] neg_lo:[0,0,1] neg_hi:[0,0,1]
	v_mov_b32_e32 v17, v19
	v_pk_add_f32 v[16:17], v[0:1], v[16:17]
	v_mov_b32_e32 v19, v21
	v_mov_b32_e32 v21, v33
	v_pk_add_f32 v[16:17], v[20:21], v[16:17]
	v_pk_mul_f32 v[20:21], v[12:13], s[16:17] op_sel_hi:[1,0]
	s_barrier
	v_pk_fma_f32 v[36:37], v[10:11], s[14:15], v[20:21] op_sel:[0,0,1] op_sel_hi:[1,0,0]
	v_pk_fma_f32 v[20:21], v[10:11], s[14:15], v[20:21] op_sel:[0,0,1] op_sel_hi:[1,0,0] neg_lo:[0,0,1] neg_hi:[0,0,1]
	s_nop 0
	v_mov_b32_e32 v33, v21
	v_mov_b32_e32 v21, v37
	v_pk_add_f32 v[16:17], v[20:21], v[16:17]
	v_pk_mul_f32 v[20:21], v[24:25], s[20:21] op_sel_hi:[1,0]
	v_pk_mul_f32 v[42:43], v[8:9], s[20:21] op_sel_hi:[1,0]
	v_pk_fma_f32 v[38:39], v[22:23], s[18:19], v[20:21] op_sel:[0,0,1] op_sel_hi:[1,0,0]
	v_pk_fma_f32 v[20:21], v[22:23], s[18:19], v[20:21] op_sel:[0,0,1] op_sel_hi:[1,0,0] neg_lo:[0,0,1] neg_hi:[0,0,1]
	v_pk_fma_f32 v[70:71], v[30:31], s[18:19], v[42:43] op_sel:[0,0,1] op_sel_hi:[1,0,0] neg_lo:[0,0,1] neg_hi:[0,0,1]
	v_mov_b32_e32 v37, v21
	v_mov_b32_e32 v21, v39
	v_pk_add_f32 v[16:17], v[20:21], v[16:17]
	v_pk_mul_f32 v[20:21], v[6:7], s[26:27] op_sel_hi:[1,0]
	v_pk_fma_f32 v[42:43], v[30:31], s[18:19], v[42:43] op_sel:[0,0,1] op_sel_hi:[1,0,0]
	v_pk_fma_f32 v[40:41], v[26:27], s[24:25], v[20:21] op_sel:[0,0,1] op_sel_hi:[1,0,0]
	v_pk_fma_f32 v[20:21], v[26:27], s[24:25], v[20:21] op_sel:[0,0,1] op_sel_hi:[1,0,0] neg_lo:[0,0,1] neg_hi:[0,0,1]
	v_mov_b32_e32 v72, v70
	v_mov_b32_e32 v39, v21
	;; [unrolled: 1-line block ×3, first 2 shown]
	v_pk_add_f32 v[16:17], v[20:21], v[16:17]
	v_mul_lo_u16_e32 v20, 11, v48
	v_lshl_add_u32 v83, v20, 3, v110
	ds_write2_b64 v83, v[4:5], v[16:17] offset1:1
	v_pk_mul_f32 v[4:5], v[2:3], s[28:29] op_sel_hi:[1,0]
	v_mov_b32_e32 v73, v43
	v_pk_fma_f32 v[16:17], v[14:15], s[2:3], v[4:5] op_sel:[0,0,1] op_sel_hi:[1,0,0] neg_lo:[0,0,1] neg_hi:[0,0,1]
	v_pk_fma_f32 v[20:21], v[14:15], s[2:3], v[4:5] op_sel:[0,0,1] op_sel_hi:[1,0,0]
	v_mov_b32_e32 v4, v16
	v_mov_b32_e32 v5, v21
	v_pk_add_f32 v[4:5], v[0:1], v[4:5]
	s_mov_b32 s28, 0x3e903f40
	v_pk_add_f32 v[4:5], v[72:73], v[4:5]
	v_pk_mul_f32 v[72:73], v[12:13], s[28:29] op_sel_hi:[1,0]
	v_pk_mul_f32 v[92:93], v[8:9], s[28:29] op_sel_hi:[1,0]
	v_pk_fma_f32 v[74:75], v[10:11], s[24:25], v[72:73] op_sel:[0,0,1] op_sel_hi:[1,0,0] neg_lo:[0,0,1] neg_hi:[0,0,1]
	v_pk_fma_f32 v[72:73], v[10:11], s[24:25], v[72:73] op_sel:[0,0,1] op_sel_hi:[1,0,0]
	v_mov_b32_e32 v76, v74
	v_mov_b32_e32 v77, v73
	v_pk_add_f32 v[4:5], v[76:77], v[4:5]
	v_pk_mul_f32 v[76:77], v[24:25], s[30:31] op_sel_hi:[1,0]
	v_pk_fma_f32 v[94:95], v[30:31], s[24:25], v[92:93] op_sel:[0,0,1] op_sel_hi:[1,0,0] neg_lo:[0,0,1] neg_hi:[0,0,1]
	v_pk_fma_f32 v[78:79], v[22:23], s[14:15], v[76:77] op_sel:[0,0,1] op_sel_hi:[1,0,0] neg_lo:[0,0,1] neg_hi:[0,0,1]
	v_pk_fma_f32 v[76:77], v[22:23], s[14:15], v[76:77] op_sel:[0,0,1] op_sel_hi:[1,0,0]
	v_mov_b32_e32 v80, v78
	v_mov_b32_e32 v81, v77
	v_pk_add_f32 v[4:5], v[80:81], v[4:5]
	v_pk_mul_f32 v[80:81], v[6:7], s[34:35] op_sel_hi:[1,0]
	v_pk_fma_f32 v[92:93], v[30:31], s[24:25], v[92:93] op_sel:[0,0,1] op_sel_hi:[1,0,0]
	v_pk_fma_f32 v[84:85], v[26:27], s[12:13], v[80:81] op_sel:[0,0,1] op_sel_hi:[1,0,0] neg_lo:[0,0,1] neg_hi:[0,0,1]
	v_pk_fma_f32 v[80:81], v[26:27], s[12:13], v[80:81] op_sel:[0,0,1] op_sel_hi:[1,0,0]
	v_mov_b32_e32 v86, v84
	v_mov_b32_e32 v87, v81
	v_pk_add_f32 v[4:5], v[86:87], v[4:5]
	v_pk_mul_f32 v[86:87], v[2:3], s[16:17] op_sel_hi:[1,0]
	v_mov_b32_e32 v96, v94
	v_pk_fma_f32 v[88:89], v[14:15], s[14:15], v[86:87] op_sel:[0,0,1] op_sel_hi:[1,0,0] neg_lo:[0,0,1] neg_hi:[0,0,1]
	v_pk_fma_f32 v[86:87], v[14:15], s[14:15], v[86:87] op_sel:[0,0,1] op_sel_hi:[1,0,0]
	v_mov_b32_e32 v90, v88
	v_mov_b32_e32 v91, v87
	v_pk_add_f32 v[90:91], v[0:1], v[90:91]
	v_mov_b32_e32 v97, v93
	s_mov_b32 s28, 0x3f68dda4
	v_pk_add_f32 v[90:91], v[96:97], v[90:91]
	v_pk_mul_f32 v[96:97], v[12:13], s[28:29] op_sel_hi:[1,0]
	v_pk_mul_f32 v[112:113], v[8:9], s[30:31] op_sel_hi:[1,0]
	v_pk_fma_f32 v[98:99], v[10:11], s[2:3], v[96:97] op_sel:[0,0,1] op_sel_hi:[1,0,0] neg_lo:[0,0,1] neg_hi:[0,0,1]
	v_pk_fma_f32 v[96:97], v[10:11], s[2:3], v[96:97] op_sel:[0,0,1] op_sel_hi:[1,0,0]
	v_mov_b32_e32 v100, v98
	v_mov_b32_e32 v101, v97
	v_pk_add_f32 v[90:91], v[100:101], v[90:91]
	v_pk_mul_f32 v[100:101], v[24:25], s[22:23] op_sel_hi:[1,0]
	v_pk_fma_f32 v[114:115], v[30:31], s[14:15], v[112:113] op_sel:[0,0,1] op_sel_hi:[1,0,0] neg_lo:[0,0,1] neg_hi:[0,0,1]
	v_pk_fma_f32 v[102:103], v[22:23], s[12:13], v[100:101] op_sel:[0,0,1] op_sel_hi:[1,0,0] neg_lo:[0,0,1] neg_hi:[0,0,1]
	v_pk_fma_f32 v[100:101], v[22:23], s[12:13], v[100:101] op_sel:[0,0,1] op_sel_hi:[1,0,0]
	v_mov_b32_e32 v104, v102
	v_mov_b32_e32 v105, v101
	v_pk_add_f32 v[90:91], v[104:105], v[90:91]
	v_pk_mul_f32 v[104:105], v[6:7], s[20:21] op_sel_hi:[1,0]
	v_pk_fma_f32 v[112:113], v[30:31], s[14:15], v[112:113] op_sel:[0,0,1] op_sel_hi:[1,0,0]
	v_pk_fma_f32 v[106:107], v[26:27], s[18:19], v[104:105] op_sel:[0,0,1] op_sel_hi:[1,0,0] neg_lo:[0,0,1] neg_hi:[0,0,1]
	v_pk_fma_f32 v[104:105], v[26:27], s[18:19], v[104:105] op_sel:[0,0,1] op_sel_hi:[1,0,0]
	v_mov_b32_e32 v108, v106
	v_mov_b32_e32 v109, v105
	v_pk_add_f32 v[90:91], v[108:109], v[90:91]
	ds_write2_b64 v83, v[4:5], v[90:91] offset0:2 offset1:3
	v_pk_mul_f32 v[4:5], v[2:3], s[20:21] op_sel_hi:[1,0]
	v_mov_b32_e32 v116, v114
	v_pk_fma_f32 v[90:91], v[14:15], s[18:19], v[4:5] op_sel:[0,0,1] op_sel_hi:[1,0,0] neg_lo:[0,0,1] neg_hi:[0,0,1]
	v_pk_fma_f32 v[4:5], v[14:15], s[18:19], v[4:5] op_sel:[0,0,1] op_sel_hi:[1,0,0]
	v_mov_b32_e32 v108, v90
	v_mov_b32_e32 v109, v5
	v_pk_add_f32 v[108:109], v[0:1], v[108:109]
	v_mov_b32_e32 v117, v113
	v_pk_add_f32 v[108:109], v[116:117], v[108:109]
	v_pk_mul_f32 v[116:117], v[12:13], s[22:23] op_sel_hi:[1,0]
	v_pk_mul_f32 v[2:3], v[2:3], s[26:27] op_sel_hi:[1,0]
	v_pk_fma_f32 v[118:119], v[10:11], s[12:13], v[116:117] op_sel:[0,0,1] op_sel_hi:[1,0,0] neg_lo:[0,0,1] neg_hi:[0,0,1]
	v_pk_fma_f32 v[116:117], v[10:11], s[12:13], v[116:117] op_sel:[0,0,1] op_sel_hi:[1,0,0]
	v_mov_b32_e32 v120, v118
	v_mov_b32_e32 v121, v117
	v_pk_add_f32 v[108:109], v[120:121], v[108:109]
	v_pk_mul_f32 v[120:121], v[24:25], s[26:27] op_sel_hi:[1,0]
	v_pk_mul_f32 v[8:9], v[8:9], s[34:35] op_sel_hi:[1,0]
	v_pk_fma_f32 v[122:123], v[22:23], s[24:25], v[120:121] op_sel:[0,0,1] op_sel_hi:[1,0,0] neg_lo:[0,0,1] neg_hi:[0,0,1]
	v_pk_fma_f32 v[120:121], v[22:23], s[24:25], v[120:121] op_sel:[0,0,1] op_sel_hi:[1,0,0]
	v_mov_b32_e32 v124, v122
	;; [unrolled: 7-line block ×3, first 2 shown]
	v_mov_b32_e32 v129, v125
	v_pk_add_f32 v[108:109], v[128:129], v[108:109]
	v_pk_fma_f32 v[128:129], v[14:15], s[24:25], v[2:3] op_sel:[0,0,1] op_sel_hi:[1,0,0] neg_lo:[0,0,1] neg_hi:[0,0,1]
	v_pk_fma_f32 v[2:3], v[14:15], s[24:25], v[2:3] op_sel:[0,0,1] op_sel_hi:[1,0,0]
	v_pk_fma_f32 v[14:15], v[30:31], s[12:13], v[8:9] op_sel:[0,0,1] op_sel_hi:[1,0,0] neg_lo:[0,0,1] neg_hi:[0,0,1]
	v_pk_fma_f32 v[8:9], v[30:31], s[12:13], v[8:9] op_sel:[0,0,1] op_sel_hi:[1,0,0]
	v_mov_b32_e32 v30, v128
	v_mov_b32_e32 v31, v3
	v_pk_add_f32 v[30:31], v[0:1], v[30:31]
	v_mov_b32_e32 v130, v14
	v_mov_b32_e32 v131, v9
	v_pk_add_f32 v[30:31], v[130:131], v[30:31]
	v_pk_fma_f32 v[130:131], v[10:11], s[18:19], v[12:13] op_sel:[0,0,1] op_sel_hi:[1,0,0] neg_lo:[0,0,1] neg_hi:[0,0,1]
	v_pk_fma_f32 v[10:11], v[10:11], s[18:19], v[12:13] op_sel:[0,0,1] op_sel_hi:[1,0,0]
	v_mov_b32_e32 v12, v130
	v_mov_b32_e32 v13, v11
	v_pk_mul_f32 v[24:25], v[24:25], s[28:29] op_sel_hi:[1,0]
	v_mov_b32_e32 v3, v129
	v_mov_b32_e32 v5, v91
	v_pk_add_f32 v[12:13], v[12:13], v[30:31]
	v_pk_fma_f32 v[30:31], v[22:23], s[2:3], v[24:25] op_sel:[0,0,1] op_sel_hi:[1,0,0] neg_lo:[0,0,1] neg_hi:[0,0,1]
	v_pk_fma_f32 v[22:23], v[22:23], s[2:3], v[24:25] op_sel:[0,0,1] op_sel_hi:[1,0,0]
	v_mov_b32_e32 v9, v15
	v_pk_add_f32 v[2:3], v[0:1], v[2:3]
	v_mov_b32_e32 v113, v115
	v_pk_add_f32 v[4:5], v[0:1], v[4:5]
	v_mov_b32_e32 v24, v30
	v_mov_b32_e32 v25, v23
	v_pk_mul_f32 v[6:7], v[6:7], s[16:17] op_sel_hi:[1,0]
	v_pk_add_f32 v[2:3], v[8:9], v[2:3]
	v_mov_b32_e32 v11, v131
	v_pk_add_f32 v[4:5], v[112:113], v[4:5]
	v_mov_b32_e32 v117, v119
	v_pk_add_f32 v[12:13], v[24:25], v[12:13]
	v_pk_fma_f32 v[24:25], v[26:27], s[14:15], v[6:7] op_sel:[0,0,1] op_sel_hi:[1,0,0] neg_lo:[0,0,1] neg_hi:[0,0,1]
	v_pk_fma_f32 v[6:7], v[26:27], s[14:15], v[6:7] op_sel:[0,0,1] op_sel_hi:[1,0,0]
	v_pk_add_f32 v[2:3], v[10:11], v[2:3]
	v_mov_b32_e32 v23, v31
	v_pk_add_f32 v[4:5], v[116:117], v[4:5]
	v_mov_b32_e32 v121, v123
	v_mov_b32_e32 v27, v7
	v_pk_add_f32 v[2:3], v[22:23], v[2:3]
	v_mov_b32_e32 v7, v25
	v_pk_add_f32 v[4:5], v[120:121], v[4:5]
	;; [unrolled: 2-line block ×3, first 2 shown]
	v_pk_add_f32 v[4:5], v[124:125], v[4:5]
	v_mov_b32_e32 v34, v18
	v_mov_b32_e32 v87, v89
	;; [unrolled: 1-line block ×3, first 2 shown]
	ds_write2_b64 v83, v[2:3], v[4:5] offset0:6 offset1:7
	v_pk_add_f32 v[2:3], v[0:1], v[34:35]
	v_mov_b32_e32 v93, v95
	v_pk_add_f32 v[4:5], v[0:1], v[86:87]
	v_pk_add_f32 v[0:1], v[0:1], v[20:21]
	v_mov_b32_e32 v43, v71
	v_mov_b32_e32 v18, v32
	v_pk_add_f32 v[4:5], v[92:93], v[4:5]
	v_mov_b32_e32 v97, v99
	v_pk_add_f32 v[0:1], v[42:43], v[0:1]
	;; [unrolled: 2-line block ×5, first 2 shown]
	v_mov_b32_e32 v77, v79
	v_mov_b32_e32 v26, v24
	v_pk_add_f32 v[2:3], v[32:33], v[2:3]
	v_mov_b32_e32 v36, v38
	v_pk_add_f32 v[4:5], v[100:101], v[4:5]
	;; [unrolled: 2-line block ×4, first 2 shown]
	v_pk_add_f32 v[2:3], v[36:37], v[2:3]
	v_mov_b32_e32 v38, v40
	v_pk_add_f32 v[6:7], v[104:105], v[4:5]
	v_pk_add_f32 v[0:1], v[80:81], v[0:1]
	ds_write2_b64 v83, v[108:109], v[12:13] offset0:4 offset1:5
	v_pk_add_f32 v[4:5], v[38:39], v[2:3]
	ds_write2_b64 v83, v[6:7], v[0:1] offset0:8 offset1:9
	ds_write_b64 v83, v[4:5] offset:80
	s_waitcnt lgkmcnt(0)
	s_barrier
	ds_read2_b64 v[20:23], v55 offset1:22
	ds_read2_b64 v[0:3], v55 offset0:88 offset1:121
	ds_read2_b64 v[16:19], v55 offset0:143 offset1:165
	;; [unrolled: 1-line block ×4, first 2 shown]
	s_load_dwordx2 s[2:3], s[0:1], 0x38
                                        ; implicit-def: $vgpr24
	s_and_saveexec_b64 s[0:1], vcc
	s_cbranch_execz .LBB0_3
; %bb.2:
	ds_read2_b64 v[4:7], v55 offset0:110 offset1:231
	s_waitcnt lgkmcnt(0)
	v_mov_b32_e32 v24, v7
.LBB0_3:
	s_or_b64 exec, exec, s[0:1]
	v_lshl_add_u64 v[26:27], v[48:49], 0, -11
	v_add_u16_e32 v7, 22, v48
	s_movk_i32 s0, 0x75
	v_cndmask_b32_e64 v27, v27, 0, vcc
	v_cndmask_b32_e32 v26, v26, v48, vcc
	v_mul_lo_u16_sdwa v25, v7, s0 dst_sel:DWORD dst_unused:UNUSED_PAD src0_sel:BYTE_0 src1_sel:DWORD
	v_lshl_add_u64 v[30:31], v[26:27], 3, s[10:11]
	v_sub_u16_sdwa v27, v7, v25 dst_sel:DWORD dst_unused:UNUSED_PAD src0_sel:DWORD src1_sel:BYTE_1
	v_lshrrev_b16_e32 v27, 1, v27
	v_and_b32_e32 v27, 0x7f, v27
	v_add_u16_sdwa v25, v27, v25 dst_sel:DWORD dst_unused:UNUSED_PAD src0_sel:DWORD src1_sel:BYTE_1
	v_lshrrev_b16_e32 v25, 3, v25
	v_mul_lo_u16_e32 v27, 11, v25
	v_sub_u16_e32 v27, v7, v27
	v_mov_b32_e32 v32, 3
	v_lshlrev_b32_sdwa v7, v32, v27 dst_sel:DWORD dst_unused:UNUSED_PAD src0_sel:DWORD src1_sel:BYTE_0
	global_load_dwordx2 v[74:75], v[30:31], off
	global_load_dwordx2 v[72:73], v7, s[10:11]
	v_add_u16_e32 v7, 0x6e, v48
	v_mul_lo_u16_sdwa v33, v7, s0 dst_sel:DWORD dst_unused:UNUSED_PAD src0_sel:BYTE_0 src1_sel:DWORD
	v_sub_u16_sdwa v34, v7, v33 dst_sel:DWORD dst_unused:UNUSED_PAD src0_sel:DWORD src1_sel:BYTE_1
	v_lshrrev_b16_e32 v34, 1, v34
	v_and_b32_e32 v34, 0x7f, v34
	v_add_u16_sdwa v33, v34, v33 dst_sel:DWORD dst_unused:UNUSED_PAD src0_sel:DWORD src1_sel:BYTE_1
	v_lshrrev_b16_e32 v33, 3, v33
	v_mul_lo_u16_e32 v33, 11, v33
	v_sub_u16_e32 v49, v7, v33
	v_add_u16_e32 v30, 44, v48
	v_and_b32_e32 v7, 0xff, v49
	v_mul_lo_u16_sdwa v31, v30, s0 dst_sel:DWORD dst_unused:UNUSED_PAD src0_sel:BYTE_0 src1_sel:DWORD
	v_lshlrev_b32_e32 v33, 3, v7
	global_load_dwordx2 v[70:71], v33, s[10:11]
	v_sub_u16_sdwa v33, v30, v31 dst_sel:DWORD dst_unused:UNUSED_PAD src0_sel:DWORD src1_sel:BYTE_1
	v_lshrrev_b16_e32 v33, 1, v33
	v_and_b32_e32 v33, 0x7f, v33
	v_add_u16_sdwa v31, v33, v31 dst_sel:DWORD dst_unused:UNUSED_PAD src0_sel:DWORD src1_sel:BYTE_1
	v_lshrrev_b16_e32 v33, 3, v31
	v_mul_lo_u16_e32 v31, 11, v33
	v_sub_u16_e32 v34, v30, v31
	v_add_u16_e32 v31, 0x42, v48
	v_lshlrev_b32_sdwa v30, v32, v34 dst_sel:DWORD dst_unused:UNUSED_PAD src0_sel:DWORD src1_sel:BYTE_0
	v_mul_lo_u16_sdwa v35, v31, s0 dst_sel:DWORD dst_unused:UNUSED_PAD src0_sel:BYTE_0 src1_sel:DWORD
	global_load_dwordx2 v[76:77], v30, s[10:11]
	v_sub_u16_sdwa v30, v31, v35 dst_sel:DWORD dst_unused:UNUSED_PAD src0_sel:DWORD src1_sel:BYTE_1
	v_lshrrev_b16_e32 v30, 1, v30
	v_and_b32_e32 v30, 0x7f, v30
	v_add_u16_sdwa v30, v30, v35 dst_sel:DWORD dst_unused:UNUSED_PAD src0_sel:DWORD src1_sel:BYTE_1
	v_lshrrev_b16_e32 v35, 3, v30
	v_mul_lo_u16_e32 v30, 11, v35
	v_sub_u16_e32 v36, v31, v30
	v_lshlrev_b32_sdwa v30, v32, v36 dst_sel:DWORD dst_unused:UNUSED_PAD src0_sel:DWORD src1_sel:BYTE_0
	global_load_dwordx2 v[78:79], v30, s[10:11]
	v_add_u16_e32 v30, 0x58, v48
	v_mul_lo_u16_sdwa v31, v30, s0 dst_sel:DWORD dst_unused:UNUSED_PAD src0_sel:BYTE_0 src1_sel:DWORD
	v_sub_u16_sdwa v37, v30, v31 dst_sel:DWORD dst_unused:UNUSED_PAD src0_sel:DWORD src1_sel:BYTE_1
	v_lshrrev_b16_e32 v37, 1, v37
	v_and_b32_e32 v37, 0x7f, v37
	v_add_u16_sdwa v31, v37, v31 dst_sel:DWORD dst_unused:UNUSED_PAD src0_sel:DWORD src1_sel:BYTE_1
	v_lshrrev_b16_e32 v37, 3, v31
	v_mul_lo_u16_e32 v31, 11, v37
	v_sub_u16_e32 v38, v30, v31
	v_lshlrev_b32_sdwa v30, v32, v38 dst_sel:DWORD dst_unused:UNUSED_PAD src0_sel:DWORD src1_sel:BYTE_0
	global_load_dwordx2 v[80:81], v30, s[10:11]
	v_cmp_lt_u16_e64 s[0:1], 10, v48
	v_lshl_add_u64 v[30:31], s[8:9], 0, v[28:29]
	v_mad_legacy_u16 v25, v25, 22, v27
	v_cndmask_b32_e64 v29, 0, 22, s[0:1]
	v_add_u32_e32 v26, v26, v29
	v_lshl_add_u32 v111, v26, 3, v110
	v_mul_u32_u24_e32 v26, 22, v33
	v_add_u32_sdwa v26, v26, v34 dst_sel:DWORD dst_unused:UNUSED_PAD src0_sel:DWORD src1_sel:BYTE_0
	v_lshl_add_u32 v112, v26, 3, v110
	v_and_b32_e32 v25, 0xff, v25
	s_waitcnt lgkmcnt(0)
	s_barrier
	v_lshl_add_u32 v113, v25, 3, v110
	s_waitcnt vmcnt(5)
	v_pk_mul_f32 v[26:27], v[2:3], v[74:75] op_sel:[0,1]
	s_nop 0
	v_pk_fma_f32 v[32:33], v[2:3], v[74:75], v[26:27] op_sel:[0,0,1] op_sel_hi:[1,1,0] neg_lo:[0,0,1] neg_hi:[0,0,1]
	v_pk_fma_f32 v[2:3], v[2:3], v[74:75], v[26:27] op_sel:[0,0,1] op_sel_hi:[1,0,0]
	s_nop 0
	v_mov_b32_e32 v33, v3
	v_pk_add_f32 v[2:3], v[20:21], v[32:33] neg_lo:[0,1] neg_hi:[0,1]
	s_nop 0
	v_pk_fma_f32 v[20:21], v[20:21], 2.0, v[2:3] op_sel_hi:[1,0,1] neg_lo:[0,0,1] neg_hi:[0,0,1]
	ds_write2_b64 v111, v[20:21], v[2:3] offset1:11
	s_waitcnt vmcnt(4)
	v_pk_mul_f32 v[2:3], v[16:17], v[72:73] op_sel:[0,1]
	s_waitcnt vmcnt(3)
	v_pk_mul_f32 v[20:21], v[24:25], v[70:71] op_sel_hi:[0,1]
	v_pk_fma_f32 v[24:25], v[16:17], v[72:73], v[2:3] op_sel:[0,0,1] op_sel_hi:[1,1,0] neg_lo:[0,0,1] neg_hi:[0,0,1]
	v_pk_fma_f32 v[2:3], v[16:17], v[72:73], v[2:3] op_sel:[0,0,1] op_sel_hi:[1,0,0]
	v_pk_fma_f32 v[16:17], v[6:7], v[70:71], v[20:21] op_sel:[0,0,1] op_sel_hi:[1,1,0] neg_lo:[0,0,1] neg_hi:[0,0,1]
	v_pk_fma_f32 v[20:21], v[6:7], v[70:71], v[20:21] op_sel:[0,0,1] op_sel_hi:[0,1,0]
	v_mov_b32_e32 v25, v3
	v_mov_b32_e32 v17, v21
	v_pk_add_f32 v[20:21], v[22:23], v[24:25] neg_lo:[0,1] neg_hi:[0,1]
	v_pk_add_f32 v[2:3], v[4:5], v[16:17] neg_lo:[0,1] neg_hi:[0,1]
	v_pk_fma_f32 v[16:17], v[22:23], 2.0, v[20:21] op_sel_hi:[1,0,1] neg_lo:[0,0,1] neg_hi:[0,0,1]
	ds_write2_b64 v113, v[16:17], v[20:21] offset1:11
	s_waitcnt vmcnt(2)
	v_pk_mul_f32 v[16:17], v[18:19], v[76:77] op_sel:[0,1]
	v_mul_u32_u24_e32 v6, 22, v35
	v_pk_fma_f32 v[20:21], v[18:19], v[76:77], v[16:17] op_sel:[0,0,1] op_sel_hi:[1,1,0] neg_lo:[0,0,1] neg_hi:[0,0,1]
	v_pk_fma_f32 v[16:17], v[18:19], v[76:77], v[16:17] op_sel:[0,0,1] op_sel_hi:[1,0,0]
	v_add_u32_sdwa v6, v6, v36 dst_sel:DWORD dst_unused:UNUSED_PAD src0_sel:DWORD src1_sel:BYTE_0
	v_mov_b32_e32 v21, v17
	v_pk_add_f32 v[16:17], v[12:13], v[20:21] neg_lo:[0,1] neg_hi:[0,1]
	v_lshl_add_u32 v114, v6, 3, v110
	v_pk_fma_f32 v[12:13], v[12:13], 2.0, v[16:17] op_sel_hi:[1,0,1] neg_lo:[0,0,1] neg_hi:[0,0,1]
	ds_write2_b64 v112, v[12:13], v[16:17] offset1:11
	s_waitcnt vmcnt(1)
	v_pk_mul_f32 v[12:13], v[8:9], v[78:79] op_sel:[0,1]
	v_mul_u32_u24_e32 v6, 22, v37
	v_pk_fma_f32 v[16:17], v[8:9], v[78:79], v[12:13] op_sel:[0,0,1] op_sel_hi:[1,1,0] neg_lo:[0,0,1] neg_hi:[0,0,1]
	v_pk_fma_f32 v[8:9], v[8:9], v[78:79], v[12:13] op_sel:[0,0,1] op_sel_hi:[1,0,0]
	v_add_u32_sdwa v6, v6, v38 dst_sel:DWORD dst_unused:UNUSED_PAD src0_sel:DWORD src1_sel:BYTE_0
	v_mov_b32_e32 v17, v9
	v_pk_add_f32 v[8:9], v[14:15], v[16:17] neg_lo:[0,1] neg_hi:[0,1]
	v_lshl_add_u32 v115, v6, 3, v110
	v_pk_fma_f32 v[12:13], v[14:15], 2.0, v[8:9] op_sel_hi:[1,0,1] neg_lo:[0,0,1] neg_hi:[0,0,1]
	ds_write2_b64 v114, v[12:13], v[8:9] offset1:11
	s_waitcnt vmcnt(0)
	v_pk_mul_f32 v[8:9], v[10:11], v[80:81] op_sel:[0,1]
	s_nop 0
	v_pk_fma_f32 v[12:13], v[10:11], v[80:81], v[8:9] op_sel:[0,0,1] op_sel_hi:[1,1,0] neg_lo:[0,0,1] neg_hi:[0,0,1]
	v_pk_fma_f32 v[8:9], v[10:11], v[80:81], v[8:9] op_sel:[0,0,1] op_sel_hi:[1,0,0]
	s_nop 0
	v_mov_b32_e32 v13, v9
	v_pk_add_f32 v[8:9], v[0:1], v[12:13] neg_lo:[0,1] neg_hi:[0,1]
	s_nop 0
	v_pk_fma_f32 v[0:1], v[0:1], 2.0, v[8:9] op_sel_hi:[1,0,1] neg_lo:[0,0,1] neg_hi:[0,0,1]
	ds_write2_b64 v115, v[0:1], v[8:9] offset1:11
	s_and_saveexec_b64 s[0:1], vcc
	s_cbranch_execz .LBB0_5
; %bb.4:
	v_lshl_add_u32 v6, v7, 3, v110
	v_pk_fma_f32 v[0:1], v[4:5], 2.0, v[2:3] op_sel_hi:[1,0,1] neg_lo:[0,0,1] neg_hi:[0,0,1]
	ds_write2_b64 v6, v[0:1], v[2:3] offset0:220 offset1:231
.LBB0_5:
	s_or_b64 exec, exec, s[0:1]
	s_movk_i32 s0, 0x50
	v_mov_b64_e32 v[0:1], s[10:11]
	v_mad_u64_u32 v[0:1], s[0:1], v48, s0, v[0:1]
	s_waitcnt lgkmcnt(0)
	s_barrier
	global_load_dwordx4 v[4:7], v[0:1], off offset:136
	global_load_dwordx4 v[12:15], v[0:1], off offset:120
	;; [unrolled: 1-line block ×5, first 2 shown]
	ds_read2_b64 v[32:35], v55 offset0:44 offset1:66
	ds_read2_b64 v[24:27], v55 offset1:22
	ds_read2_b64 v[36:39], v55 offset0:88 offset1:110
	ds_read2_b64 v[40:43], v55 offset0:132 offset1:154
	ds_read2_b64 v[92:95], v55 offset0:176 offset1:198
	ds_read_b64 v[0:1], v55 offset:1760
	s_mov_b32 s0, 0xbf0a6770
	s_mov_b32 s1, 0x3f575c64
	s_mov_b32 s26, s1
	s_mov_b32 s27, s0
	s_mov_b32 s20, 0xbf68dda4
	s_mov_b32 s21, 0x3ed4b147
	s_mov_b32 s28, s21
	s_mov_b32 s29, s20
	s_mov_b32 s10, 0xbf7d64f0
	s_mov_b32 s11, 0xbe11bafb
	s_mov_b32 s30, s11
	s_mov_b32 s31, s10
	s_mov_b32 s12, 0xbf4178ce
	s_mov_b32 s13, 0xbf27a4f4
	s_mov_b32 s34, s13
	s_mov_b32 s35, s12
	s_mov_b32 s14, 0xbe903f40
	s_mov_b32 s15, 0xbf75a155
	s_mov_b32 s36, s15
	s_mov_b32 s37, s14
	s_mov_b32 s24, 0x3e903f40
	s_mov_b32 s18, s15
	s_mov_b32 s19, s24
	s_mov_b32 s25, s15
	s_mov_b32 s22, 0x3f7d64f0
	s_mov_b32 s38, s11
	s_mov_b32 s39, s22
	s_mov_b32 s23, s11
	s_mov_b32 s16, 0x3f0a6770
	s_mov_b32 s40, s1
	s_mov_b32 s41, s16
	s_mov_b32 s17, s1
	s_mov_b32 s42, s21
	s_add_u32 s8, s8, 0x790
	s_addc_u32 s9, s9, 0
	s_waitcnt vmcnt(4)
	v_mov_b32_e32 v84, v7
	s_waitcnt lgkmcnt(2)
	v_pk_mul_f32 v[104:105], v[42:43], v[4:5] op_sel:[0,1]
	s_waitcnt vmcnt(2)
	v_mov_b32_e32 v88, v23
	s_waitcnt vmcnt(1)
	v_mov_b32_e32 v96, v9
	v_pk_mul_f32 v[98:99], v[26:27], v[8:9] op_sel:[1,0] op_sel_hi:[0,1]
	v_pk_mul_f32 v[100:101], v[34:35], v[20:21] op_sel:[0,1]
	v_mov_b32_e32 v90, v11
	s_waitcnt vmcnt(0)
	v_mov_b32_e32 v82, v19
	s_waitcnt lgkmcnt(1)
	v_pk_mul_f32 v[106:107], v[94:95], v[16:17] op_sel:[0,1]
	v_pk_mul_f32 v[96:97], v[26:27], v[96:97] op_sel:[1,0] op_sel_hi:[0,1]
	v_mov_b32_e32 v98, v99
	v_pk_fma_f32 v[116:117], v[34:35], v[20:21], v[100:101] op_sel:[0,0,1] op_sel_hi:[1,1,0] neg_lo:[0,0,1] neg_hi:[0,0,1]
	v_pk_fma_f32 v[34:35], v[34:35], v[20:21], v[100:101] op_sel:[0,0,1] op_sel_hi:[1,0,0]
	v_pk_mul_f32 v[100:101], v[36:37], v[88:89] op_sel_hi:[1,0]
	v_pk_mul_f32 v[108:109], v[32:33], v[90:91] op_sel_hi:[1,0]
	v_pk_fma_f32 v[120:121], v[42:43], v[4:5], v[104:105] op_sel:[0,0,1] op_sel_hi:[1,1,0] neg_lo:[0,0,1] neg_hi:[0,0,1]
	v_pk_fma_f32 v[42:43], v[42:43], v[4:5], v[104:105] op_sel:[0,0,1] op_sel_hi:[1,0,0]
	v_pk_mul_f32 v[104:105], v[92:93], v[84:85] op_sel_hi:[1,0]
	v_pk_fma_f32 v[122:123], v[94:95], v[16:17], v[106:107] op_sel:[0,0,1] op_sel_hi:[1,1,0] neg_lo:[0,0,1] neg_hi:[0,0,1]
	v_pk_fma_f32 v[94:95], v[94:95], v[16:17], v[106:107] op_sel:[0,0,1] op_sel_hi:[1,0,0]
	s_waitcnt lgkmcnt(0)
	v_pk_mul_f32 v[106:107], v[0:1], v[82:83] op_sel_hi:[1,0]
	v_pk_fma_f32 v[96:97], v[26:27], v[8:9], v[96:97] neg_lo:[0,0,1] neg_hi:[0,0,1]
	v_pk_fma_f32 v[26:27], v[26:27], v[8:9], v[98:99] op_sel:[1,0,0] op_sel_hi:[0,1,1]
	v_mov_b32_e32 v117, v35
	v_pk_fma_f32 v[34:35], v[36:37], v[22:23], v[100:101] op_sel:[0,0,1] op_sel_hi:[1,1,0] neg_lo:[0,0,1] neg_hi:[0,0,1]
	v_pk_fma_f32 v[36:37], v[36:37], v[22:23], v[100:101] op_sel:[0,0,1] op_sel_hi:[1,0,0]
	v_pk_fma_f32 v[98:99], v[32:33], v[10:11], v[108:109] op_sel:[0,0,1] op_sel_hi:[1,1,0] neg_lo:[0,0,1] neg_hi:[0,0,1]
	v_pk_fma_f32 v[32:33], v[32:33], v[10:11], v[108:109] op_sel:[0,0,1] op_sel_hi:[1,0,0]
	v_mov_b32_e32 v121, v43
	v_pk_fma_f32 v[42:43], v[92:93], v[6:7], v[104:105] op_sel:[0,0,1] op_sel_hi:[1,1,0] neg_lo:[0,0,1] neg_hi:[0,0,1]
	v_pk_fma_f32 v[92:93], v[92:93], v[6:7], v[104:105] op_sel:[0,0,1] op_sel_hi:[1,0,0]
	v_mov_b32_e32 v123, v95
	v_pk_fma_f32 v[94:95], v[0:1], v[18:19], v[106:107] op_sel:[0,0,1] op_sel_hi:[1,0,0] neg_lo:[0,0,1] neg_hi:[0,0,1]
	v_pk_fma_f32 v[0:1], v[0:1], v[18:19], v[106:107] op_sel:[0,0,1] op_sel_hi:[1,0,0]
	v_mov_b32_e32 v35, v37
	v_mov_b32_e32 v36, v96
	v_mov_b32_e32 v37, v26
	;; [unrolled: 1-line block ×4, first 2 shown]
	v_pk_add_f32 v[36:37], v[24:25], v[36:37]
	v_mov_b32_e32 v86, v15
	v_pk_mul_f32 v[102:103], v[38:39], v[12:13] op_sel:[0,1]
	v_mov_b32_e32 v7, v26
	v_pk_add_f32 v[104:105], v[26:27], v[92:93] neg_lo:[0,1] neg_hi:[0,1]
	v_pk_add_f32 v[26:27], v[36:37], v[98:99]
	v_pk_fma_f32 v[118:119], v[38:39], v[12:13], v[102:103] op_sel:[0,0,1] op_sel_hi:[1,1,0] neg_lo:[0,0,1] neg_hi:[0,0,1]
	v_pk_fma_f32 v[38:39], v[38:39], v[12:13], v[102:103] op_sel:[0,0,1] op_sel_hi:[1,0,0]
	v_pk_mul_f32 v[102:103], v[40:41], v[86:87] op_sel_hi:[1,0]
	v_pk_add_f32 v[26:27], v[26:27], v[116:117]
	v_mov_b32_e32 v119, v39
	v_pk_fma_f32 v[38:39], v[40:41], v[14:15], v[102:103] op_sel:[0,0,1] op_sel_hi:[1,1,0] neg_lo:[0,0,1] neg_hi:[0,0,1]
	v_pk_fma_f32 v[40:41], v[40:41], v[14:15], v[102:103] op_sel:[0,0,1] op_sel_hi:[1,0,0]
	v_pk_add_f32 v[26:27], v[26:27], v[34:35]
	v_mov_b32_e32 v39, v41
	v_pk_add_f32 v[26:27], v[26:27], v[118:119]
	v_mov_b32_e32 v43, v93
	v_pk_add_f32 v[26:27], v[26:27], v[38:39]
	v_pk_add_f32 v[102:103], v[96:97], v[94:95]
	;; [unrolled: 1-line block ×3, first 2 shown]
	v_pk_add_f32 v[40:41], v[96:97], v[94:95] neg_lo:[0,1] neg_hi:[0,1]
	v_pk_add_f32 v[26:27], v[26:27], v[42:43]
	v_mov_b32_e32 v32, v94
	v_mov_b32_e32 v33, v1
	v_pk_add_f32 v[0:1], v[6:7], v[0:1]
	v_mov_b32_e32 v103, v40
	v_pk_add_f32 v[26:27], v[26:27], v[122:123]
	v_pk_add_f32 v[108:109], v[116:117], v[42:43]
	v_pk_add_f32 v[94:95], v[116:117], v[42:43] neg_lo:[0,1] neg_hi:[0,1]
	v_mov_b32_e32 v0, v104
	v_pk_add_f32 v[116:117], v[26:27], v[32:33]
	v_pk_mul_f32 v[32:33], v[102:103], s[26:27]
	v_pk_add_f32 v[124:125], v[34:35], v[120:121]
	v_pk_add_f32 v[96:97], v[34:35], v[120:121] neg_lo:[0,1] neg_hi:[0,1]
	v_pk_fma_f32 v[34:35], v[104:105], s[0:1], v[32:33] neg_lo:[1,0,0] neg_hi:[1,0,0]
	v_pk_fma_f32 v[26:27], v[0:1], s[0:1], v[32:33]
	v_pk_add_f32 v[106:107], v[98:99], v[122:123]
	v_pk_add_f32 v[92:93], v[98:99], v[122:123] neg_lo:[0,1] neg_hi:[0,1]
	v_mov_b32_e32 v35, v27
	v_pk_add_f32 v[40:41], v[24:25], v[34:35]
	v_mov_b32_e32 v35, v107
	v_mov_b32_e32 v107, v92
	v_pk_add_f32 v[126:127], v[118:119], v[38:39]
	v_pk_add_f32 v[128:129], v[118:119], v[38:39] neg_lo:[0,1] neg_hi:[0,1]
	v_mov_b32_e32 v34, v93
	v_pk_mul_f32 v[38:39], v[106:107], s[28:29]
	v_pk_mul_f32 v[130:131], v[106:107], s[34:35]
	v_pk_fma_f32 v[42:43], v[34:35], s[20:21], v[38:39] neg_lo:[1,0,0] neg_hi:[1,0,0]
	v_pk_fma_f32 v[36:37], v[34:35], s[20:21], v[38:39]
	v_pk_fma_f32 v[132:133], v[34:35], s[12:13], v[130:131] neg_lo:[1,0,0] neg_hi:[1,0,0]
	v_mov_b32_e32 v43, v37
	v_pk_add_f32 v[98:99], v[42:43], v[40:41]
	v_mov_b32_e32 v41, v109
	v_mov_b32_e32 v109, v94
	;; [unrolled: 1-line block ×3, first 2 shown]
	v_pk_mul_f32 v[92:93], v[108:109], s[30:31]
	v_pk_fma_f32 v[134:135], v[34:35], s[12:13], v[130:131]
	v_pk_fma_f32 v[94:95], v[40:41], s[10:11], v[92:93] neg_lo:[1,0,0] neg_hi:[1,0,0]
	v_pk_fma_f32 v[42:43], v[40:41], s[10:11], v[92:93]
	v_mov_b32_e32 v133, v135
	v_mov_b32_e32 v95, v43
	v_pk_add_f32 v[100:101], v[94:95], v[98:99]
	v_mov_b32_e32 v95, v125
	v_mov_b32_e32 v125, v96
	;; [unrolled: 1-line block ×3, first 2 shown]
	v_pk_mul_f32 v[98:99], v[124:125], s[34:35]
	v_pk_mul_f32 v[152:153], v[106:107], s[18:19]
	v_pk_fma_f32 v[118:119], v[94:95], s[12:13], v[98:99] neg_lo:[1,0,0] neg_hi:[1,0,0]
	v_pk_fma_f32 v[96:97], v[94:95], s[12:13], v[98:99]
	v_pk_fma_f32 v[154:155], v[34:35], s[24:25], v[152:153] neg_lo:[1,0,0] neg_hi:[1,0,0]
	v_mov_b32_e32 v119, v97
	v_pk_add_f32 v[118:119], v[118:119], v[100:101]
	v_mov_b32_e32 v101, v127
	v_mov_b32_e32 v127, v128
	;; [unrolled: 1-line block ×3, first 2 shown]
	v_pk_mul_f32 v[120:121], v[126:127], s[36:37]
	v_pk_fma_f32 v[156:157], v[34:35], s[24:25], v[152:153]
	v_pk_fma_f32 v[122:123], v[100:101], s[14:15], v[120:121] neg_lo:[1,0,0] neg_hi:[1,0,0]
	v_pk_fma_f32 v[128:129], v[100:101], s[14:15], v[120:121]
	v_mov_b32_e32 v155, v157
	v_mov_b32_e32 v123, v129
	v_pk_add_f32 v[118:119], v[122:123], v[118:119]
	ds_write2_b64 v55, v[116:117], v[118:119] offset1:22
	v_pk_mul_f32 v[116:117], v[102:103], s[28:29]
	v_pk_mul_f32 v[170:171], v[106:107], s[38:39]
	v_pk_fma_f32 v[118:119], v[104:105], s[20:21], v[116:117] neg_lo:[1,0,0] neg_hi:[1,0,0]
	v_pk_fma_f32 v[122:123], v[0:1], s[20:21], v[116:117]
	v_pk_fma_f32 v[172:173], v[34:35], s[22:23], v[170:171] neg_lo:[1,0,0] neg_hi:[1,0,0]
	v_mov_b32_e32 v119, v123
	v_pk_add_f32 v[118:119], v[24:25], v[118:119]
	v_pk_fma_f32 v[174:175], v[34:35], s[22:23], v[170:171]
	v_pk_add_f32 v[118:119], v[132:133], v[118:119]
	v_pk_mul_f32 v[132:133], v[108:109], s[18:19]
	s_mov_b32 s18, 0x3f68dda4
	v_pk_fma_f32 v[136:137], v[40:41], s[24:25], v[132:133] neg_lo:[1,0,0] neg_hi:[1,0,0]
	v_pk_fma_f32 v[138:139], v[40:41], s[24:25], v[132:133]
	s_mov_b32 s43, s18
	v_mov_b32_e32 v137, v139
	v_pk_add_f32 v[118:119], v[136:137], v[118:119]
	v_pk_mul_f32 v[136:137], v[124:125], s[38:39]
	s_mov_b32 s19, s21
	v_pk_fma_f32 v[140:141], v[94:95], s[22:23], v[136:137] neg_lo:[1,0,0] neg_hi:[1,0,0]
	v_pk_fma_f32 v[142:143], v[94:95], s[22:23], v[136:137]
	v_mov_b32_e32 v173, v175
	v_mov_b32_e32 v141, v143
	v_pk_add_f32 v[118:119], v[140:141], v[118:119]
	v_pk_mul_f32 v[140:141], v[126:127], s[40:41]
	v_pk_mul_f32 v[106:107], v[106:107], s[40:41]
	v_pk_fma_f32 v[144:145], v[100:101], s[16:17], v[140:141] neg_lo:[1,0,0] neg_hi:[1,0,0]
	v_pk_fma_f32 v[146:147], v[100:101], s[16:17], v[140:141]
	v_pk_fma_f32 v[188:189], v[34:35], s[16:17], v[106:107] neg_lo:[1,0,0] neg_hi:[1,0,0]
	v_mov_b32_e32 v145, v147
	v_pk_add_f32 v[118:119], v[144:145], v[118:119]
	v_pk_mul_f32 v[144:145], v[102:103], s[30:31]
	v_pk_fma_f32 v[190:191], v[34:35], s[16:17], v[106:107]
	v_pk_fma_f32 v[148:149], v[104:105], s[10:11], v[144:145] neg_lo:[1,0,0] neg_hi:[1,0,0]
	v_pk_fma_f32 v[150:151], v[0:1], s[10:11], v[144:145]
	v_mov_b32_e32 v189, v191
	v_mov_b32_e32 v149, v151
	v_pk_add_f32 v[148:149], v[24:25], v[148:149]
	s_mov_b32 s38, s13
	v_pk_add_f32 v[148:149], v[154:155], v[148:149]
	v_pk_mul_f32 v[154:155], v[108:109], s[42:43]
	s_nop 0
	v_pk_fma_f32 v[158:159], v[40:41], s[18:19], v[154:155] neg_lo:[1,0,0] neg_hi:[1,0,0]
	v_pk_fma_f32 v[160:161], v[40:41], s[18:19], v[154:155]
	s_nop 0
	v_mov_b32_e32 v159, v161
	v_pk_add_f32 v[148:149], v[158:159], v[148:149]
	v_pk_mul_f32 v[158:159], v[124:125], s[26:27]
	s_nop 0
	v_pk_fma_f32 v[162:163], v[94:95], s[0:1], v[158:159] neg_lo:[1,0,0] neg_hi:[1,0,0]
	v_pk_fma_f32 v[164:165], v[94:95], s[0:1], v[158:159]
	s_nop 0
	v_mov_b32_e32 v163, v165
	;; [unrolled: 7-line block ×3, first 2 shown]
	v_pk_add_f32 v[148:149], v[166:167], v[148:149]
	ds_write2_b64 v55, v[118:119], v[148:149] offset0:44 offset1:66
	v_pk_mul_f32 v[118:119], v[102:103], s[34:35]
	v_pk_mul_f32 v[102:103], v[102:103], s[36:37]
	v_pk_fma_f32 v[148:149], v[104:105], s[12:13], v[118:119] neg_lo:[1,0,0] neg_hi:[1,0,0]
	v_pk_fma_f32 v[166:167], v[0:1], s[12:13], v[118:119]
	v_pk_fma_f32 v[104:105], v[104:105], s[14:15], v[102:103] neg_lo:[1,0,0] neg_hi:[1,0,0]
	v_mov_b32_e32 v149, v167
	v_pk_add_f32 v[148:149], v[24:25], v[148:149]
	s_nop 0
	v_pk_add_f32 v[148:149], v[172:173], v[148:149]
	v_pk_mul_f32 v[172:173], v[108:109], s[26:27]
	v_pk_mul_f32 v[108:109], v[108:109], s[34:35]
	v_pk_fma_f32 v[176:177], v[40:41], s[0:1], v[172:173] neg_lo:[1,0,0] neg_hi:[1,0,0]
	v_pk_fma_f32 v[178:179], v[40:41], s[0:1], v[172:173]
	v_pk_fma_f32 v[192:193], v[40:41], s[12:13], v[108:109]
	v_mov_b32_e32 v177, v179
	v_pk_add_f32 v[148:149], v[176:177], v[148:149]
	v_pk_mul_f32 v[176:177], v[124:125], s[36:37]
	v_pk_mul_f32 v[124:125], v[124:125], s[42:43]
	v_pk_fma_f32 v[180:181], v[94:95], s[14:15], v[176:177] neg_lo:[1,0,0] neg_hi:[1,0,0]
	v_pk_fma_f32 v[182:183], v[94:95], s[14:15], v[176:177]
	v_pk_fma_f32 v[194:195], v[94:95], s[18:19], v[124:125]
	v_mov_b32_e32 v181, v183
	;; [unrolled: 7-line block ×3, first 2 shown]
	v_pk_add_f32 v[148:149], v[184:185], v[148:149]
	v_pk_fma_f32 v[184:185], v[0:1], s[14:15], v[102:103]
	v_pk_fma_f32 v[102:103], v[0:1], s[14:15], v[102:103] neg_lo:[0,0,1] neg_hi:[0,0,1]
	v_mov_b32_e32 v105, v185
	v_pk_add_f32 v[104:105], v[24:25], v[104:105]
	v_mov_b32_e32 v185, v103
	v_pk_add_f32 v[104:105], v[188:189], v[104:105]
	v_pk_fma_f32 v[188:189], v[40:41], s[12:13], v[108:109] neg_lo:[1,0,0] neg_hi:[1,0,0]
	v_pk_fma_f32 v[102:103], v[34:35], s[16:17], v[106:107] neg_lo:[0,0,1] neg_hi:[0,0,1]
	v_mov_b32_e32 v189, v193
	v_pk_add_f32 v[104:105], v[188:189], v[104:105]
	v_pk_fma_f32 v[188:189], v[94:95], s[18:19], v[124:125] neg_lo:[1,0,0] neg_hi:[1,0,0]
	v_mov_b32_e32 v191, v103
	v_mov_b32_e32 v189, v195
	v_pk_add_f32 v[104:105], v[188:189], v[104:105]
	v_pk_fma_f32 v[188:189], v[100:101], s[10:11], v[126:127] neg_lo:[1,0,0] neg_hi:[1,0,0]
	v_pk_add_f32 v[102:103], v[24:25], v[184:185]
	v_mov_b32_e32 v189, v197
	v_pk_add_f32 v[104:105], v[188:189], v[104:105]
	ds_write2_b64 v55, v[148:149], v[104:105] offset0:88 offset1:110
	v_pk_fma_f32 v[104:105], v[40:41], s[12:13], v[108:109] neg_lo:[0,0,1] neg_hi:[0,0,1]
	v_pk_fma_f32 v[106:107], v[40:41], s[0:1], v[172:173] neg_lo:[0,0,1] neg_hi:[0,0,1]
	v_mov_b32_e32 v193, v105
	v_pk_fma_f32 v[104:105], v[94:95], s[18:19], v[124:125] neg_lo:[0,0,1] neg_hi:[0,0,1]
	v_pk_add_f32 v[102:103], v[190:191], v[102:103]
	v_mov_b32_e32 v195, v105
	v_pk_fma_f32 v[104:105], v[100:101], s[10:11], v[126:127] neg_lo:[0,0,1] neg_hi:[0,0,1]
	v_mov_b32_e32 v179, v107
	v_mov_b32_e32 v197, v105
	v_pk_fma_f32 v[104:105], v[0:1], s[12:13], v[118:119] neg_lo:[0,0,1] neg_hi:[0,0,1]
	v_pk_fma_f32 v[106:107], v[94:95], s[14:15], v[176:177] neg_lo:[0,0,1] neg_hi:[0,0,1]
	v_mov_b32_e32 v167, v105
	v_pk_fma_f32 v[104:105], v[34:35], s[22:23], v[170:171] neg_lo:[0,0,1] neg_hi:[0,0,1]
	v_pk_add_f32 v[102:103], v[192:193], v[102:103]
	v_mov_b32_e32 v175, v105
	v_pk_add_f32 v[104:105], v[24:25], v[166:167]
	v_mov_b32_e32 v183, v107
	v_pk_add_f32 v[104:105], v[174:175], v[104:105]
	v_pk_fma_f32 v[106:107], v[100:101], s[18:19], v[180:181] neg_lo:[0,0,1] neg_hi:[0,0,1]
	v_pk_add_f32 v[104:105], v[178:179], v[104:105]
	v_pk_add_f32 v[102:103], v[194:195], v[102:103]
	;; [unrolled: 1-line block ×3, first 2 shown]
	v_mov_b32_e32 v187, v107
	v_pk_add_f32 v[102:103], v[196:197], v[102:103]
	v_pk_add_f32 v[104:105], v[186:187], v[104:105]
	ds_write2_b64 v55, v[102:103], v[104:105] offset0:132 offset1:154
	v_pk_fma_f32 v[104:105], v[40:41], s[18:19], v[154:155] neg_lo:[0,0,1] neg_hi:[0,0,1]
	v_pk_fma_f32 v[102:103], v[0:1], s[10:11], v[144:145] neg_lo:[0,0,1] neg_hi:[0,0,1]
	v_mov_b32_e32 v161, v105
	v_pk_fma_f32 v[104:105], v[94:95], s[0:1], v[158:159] neg_lo:[0,0,1] neg_hi:[0,0,1]
	v_mov_b32_e32 v151, v103
	v_mov_b32_e32 v165, v105
	v_pk_fma_f32 v[104:105], v[100:101], s[12:13], v[162:163] neg_lo:[0,0,1] neg_hi:[0,0,1]
	v_pk_fma_f32 v[102:103], v[34:35], s[24:25], v[152:153] neg_lo:[0,0,1] neg_hi:[0,0,1]
	v_mov_b32_e32 v169, v105
	v_pk_fma_f32 v[104:105], v[0:1], s[20:21], v[116:117] neg_lo:[0,0,1] neg_hi:[0,0,1]
	v_pk_fma_f32 v[0:1], v[0:1], s[0:1], v[32:33] neg_lo:[0,0,1] neg_hi:[0,0,1]
	v_mov_b32_e32 v123, v105
	v_mov_b32_e32 v27, v1
	;; [unrolled: 1-line block ×3, first 2 shown]
	v_pk_add_f32 v[102:103], v[24:25], v[150:151]
	v_pk_add_f32 v[104:105], v[24:25], v[122:123]
	v_pk_fma_f32 v[106:107], v[34:35], s[12:13], v[130:131] neg_lo:[0,0,1] neg_hi:[0,0,1]
	v_pk_add_f32 v[0:1], v[24:25], v[26:27]
	v_pk_fma_f32 v[24:25], v[34:35], s[20:21], v[38:39] neg_lo:[0,0,1] neg_hi:[0,0,1]
	v_mov_b32_e32 v135, v107
	v_pk_fma_f32 v[106:107], v[40:41], s[24:25], v[132:133] neg_lo:[0,0,1] neg_hi:[0,0,1]
	v_mov_b32_e32 v37, v25
	v_pk_fma_f32 v[24:25], v[40:41], s[10:11], v[92:93] neg_lo:[0,0,1] neg_hi:[0,0,1]
	v_pk_add_f32 v[102:103], v[156:157], v[102:103]
	v_pk_add_f32 v[104:105], v[134:135], v[104:105]
	v_mov_b32_e32 v139, v107
	v_pk_fma_f32 v[106:107], v[94:95], s[22:23], v[136:137] neg_lo:[0,0,1] neg_hi:[0,0,1]
	v_pk_add_f32 v[0:1], v[36:37], v[0:1]
	v_mov_b32_e32 v43, v25
	v_pk_fma_f32 v[24:25], v[94:95], s[12:13], v[98:99] neg_lo:[0,0,1] neg_hi:[0,0,1]
	v_pk_add_f32 v[102:103], v[160:161], v[102:103]
	v_pk_add_f32 v[104:105], v[138:139], v[104:105]
	v_mov_b32_e32 v143, v107
	v_pk_fma_f32 v[106:107], v[100:101], s[16:17], v[140:141] neg_lo:[0,0,1] neg_hi:[0,0,1]
	v_pk_add_f32 v[0:1], v[42:43], v[0:1]
	v_mov_b32_e32 v97, v25
	v_pk_fma_f32 v[24:25], v[100:101], s[14:15], v[120:121] neg_lo:[0,0,1] neg_hi:[0,0,1]
	v_pk_add_f32 v[102:103], v[164:165], v[102:103]
	v_pk_add_f32 v[104:105], v[142:143], v[104:105]
	v_mov_b32_e32 v147, v107
	v_pk_add_f32 v[0:1], v[96:97], v[0:1]
	v_mov_b32_e32 v129, v25
	v_pk_add_f32 v[102:103], v[168:169], v[102:103]
	v_pk_add_f32 v[104:105], v[146:147], v[104:105]
	;; [unrolled: 1-line block ×3, first 2 shown]
	ds_write2_b64 v55, v[102:103], v[104:105] offset0:176 offset1:198
	ds_write_b64 v55, v[0:1] offset:1760
	s_waitcnt lgkmcnt(0)
	s_barrier
	global_load_dwordx2 v[0:1], v[30:31], off offset:1936
	global_load_dwordx2 v[32:33], v28, s[8:9] offset:176
	global_load_dwordx2 v[34:35], v28, s[8:9] offset:352
	;; [unrolled: 1-line block ×10, first 2 shown]
	ds_read2_b64 v[24:27], v55 offset1:22
	ds_read2_b64 v[28:31], v55 offset0:44 offset1:66
	s_mov_b32 s8, s21
	s_waitcnt vmcnt(10) lgkmcnt(1)
	v_mul_f32_e32 v7, v25, v1
	v_mul_f32_e32 v101, v24, v1
	v_fma_f32 v100, v24, v0, -v7
	v_fmac_f32_e32 v101, v25, v0
	s_waitcnt vmcnt(9)
	v_mul_f32_e32 v0, v27, v33
	v_mul_f32_e32 v1, v26, v33
	v_fma_f32 v0, v26, v32, -v0
	v_fmac_f32_e32 v1, v27, v32
	ds_read2_b64 v[24:27], v55 offset0:88 offset1:110
	ds_write2_b64 v55, v[100:101], v[0:1] offset1:22
	s_waitcnt vmcnt(8) lgkmcnt(2)
	v_mul_f32_e32 v1, v28, v35
	v_mul_f32_e32 v0, v29, v35
	v_fmac_f32_e32 v1, v29, v34
	s_waitcnt vmcnt(7)
	v_mul_f32_e32 v7, v31, v37
	v_mul_f32_e32 v29, v30, v37
	v_fma_f32 v0, v28, v34, -v0
	v_fma_f32 v28, v30, v36, -v7
	v_fmac_f32_e32 v29, v31, v36
	ds_write2_b64 v55, v[0:1], v[28:29] offset0:44 offset1:66
	s_waitcnt vmcnt(6) lgkmcnt(2)
	v_mul_f32_e32 v1, v24, v39
	ds_read2_b64 v[28:31], v55 offset0:132 offset1:154
	v_mul_f32_e32 v0, v25, v39
	v_fmac_f32_e32 v1, v25, v38
	s_waitcnt vmcnt(5)
	v_mul_f32_e32 v7, v27, v41
	v_mul_f32_e32 v25, v26, v41
	v_fma_f32 v0, v24, v38, -v0
	v_fma_f32 v24, v26, v40, -v7
	v_fmac_f32_e32 v25, v27, v40
	ds_write2_b64 v55, v[0:1], v[24:25] offset0:88 offset1:110
	ds_read2_b64 v[24:27], v55 offset0:176 offset1:198
	s_waitcnt vmcnt(4) lgkmcnt(2)
	v_mul_f32_e32 v1, v28, v43
	v_mul_f32_e32 v0, v29, v43
	v_fmac_f32_e32 v1, v29, v42
	s_waitcnt vmcnt(3)
	v_mul_f32_e32 v7, v31, v93
	v_mul_f32_e32 v29, v30, v93
	v_fma_f32 v0, v28, v42, -v0
	v_fma_f32 v28, v30, v92, -v7
	v_fmac_f32_e32 v29, v31, v92
	ds_write2_b64 v55, v[0:1], v[28:29] offset0:132 offset1:154
	s_waitcnt vmcnt(2) lgkmcnt(1)
	v_mul_f32_e32 v0, v25, v95
	v_mul_f32_e32 v1, v24, v95
	v_fma_f32 v0, v24, v94, -v0
	v_fmac_f32_e32 v1, v25, v94
	ds_read_b64 v[24:25], v55 offset:1760
	s_waitcnt vmcnt(1)
	v_mul_f32_e32 v7, v27, v97
	v_mul_f32_e32 v29, v26, v97
	v_fma_f32 v28, v26, v96, -v7
	v_fmac_f32_e32 v29, v27, v96
	ds_write2_b64 v55, v[0:1], v[28:29] offset0:176 offset1:198
	s_waitcnt vmcnt(0) lgkmcnt(1)
	v_mul_f32_e32 v0, v25, v99
	v_mul_f32_e32 v1, v24, v99
	v_fma_f32 v0, v24, v98, -v0
	v_fmac_f32_e32 v1, v25, v98
	ds_write_b64 v55, v[0:1] offset:1760
	s_waitcnt lgkmcnt(0)
	s_barrier
	ds_read2_b64 v[24:27], v55 offset1:22
	ds_read2_b64 v[30:33], v55 offset0:44 offset1:66
	ds_read2_b64 v[34:37], v55 offset0:88 offset1:110
	;; [unrolled: 1-line block ×4, first 2 shown]
	ds_read_b64 v[0:1], v55 offset:1760
	s_waitcnt lgkmcnt(5)
	v_pk_add_f32 v[28:29], v[24:25], v[26:27]
	s_waitcnt lgkmcnt(0)
	v_pk_add_f32 v[28:29], v[28:29], v[30:31]
	v_pk_add_f32 v[102:103], v[94:95], v[30:31]
	;; [unrolled: 1-line block ×3, first 2 shown]
	v_pk_add_f32 v[100:101], v[26:27], v[0:1] neg_lo:[0,1] neg_hi:[0,1]
	v_pk_add_f32 v[28:29], v[28:29], v[34:35]
	v_pk_add_f32 v[98:99], v[0:1], v[26:27]
	;; [unrolled: 1-line block ×5, first 2 shown]
	v_pk_add_f32 v[106:107], v[32:33], v[92:93] neg_lo:[0,1] neg_hi:[0,1]
	v_pk_add_f32 v[28:29], v[28:29], v[40:41]
	v_mov_b32_e32 v122, v101
	v_pk_add_f32 v[28:29], v[28:29], v[92:93]
	v_mov_b32_e32 v123, v99
	v_pk_add_f32 v[28:29], v[28:29], v[94:95]
	v_pk_add_f32 v[94:95], v[30:31], v[94:95] neg_lo:[0,1] neg_hi:[0,1]
	v_pk_add_f32 v[96:97], v[28:29], v[0:1]
	v_pk_mul_f32 v[0:1], v[100:101], s[20:21] op_sel_hi:[1,0]
	v_mov_b32_e32 v32, v102
	v_pk_fma_f32 v[28:29], v[98:99], s[8:9], v[0:1] op_sel:[0,0,1] op_sel_hi:[1,0,0]
	v_pk_fma_f32 v[26:27], v[98:99], s[8:9], v[0:1] op_sel:[0,0,1] op_sel_hi:[1,0,0] neg_lo:[0,0,1] neg_hi:[0,0,1]
	v_mov_b32_e32 v0, v98
	v_mov_b32_e32 v1, v100
	v_pk_mul_f32 v[124:125], v[0:1], s[26:27]
	v_mov_b32_e32 v33, v94
	v_pk_fma_f32 v[0:1], v[122:123], s[0:1], v[124:125] neg_lo:[1,0,0] neg_hi:[1,0,0]
	v_pk_fma_f32 v[126:127], v[122:123], s[0:1], v[124:125]
	v_mov_b32_e32 v128, v95
	v_mov_b32_e32 v129, v103
	v_pk_mul_f32 v[130:131], v[32:33], s[28:29]
	v_mov_b32_e32 v1, v127
	v_pk_fma_f32 v[32:33], v[128:129], s[20:21], v[130:131] neg_lo:[1,0,0] neg_hi:[1,0,0]
	v_pk_fma_f32 v[132:133], v[128:129], s[20:21], v[130:131]
	v_pk_add_f32 v[0:1], v[24:25], v[0:1]
	v_mov_b32_e32 v33, v133
	v_pk_add_f32 v[0:1], v[32:33], v[0:1]
	v_mov_b32_e32 v32, v104
	v_mov_b32_e32 v33, v106
	;; [unrolled: 1-line block ×4, first 2 shown]
	v_pk_mul_f32 v[136:137], v[32:33], s[30:31]
	v_pk_add_f32 v[108:109], v[40:41], v[34:35]
	v_pk_fma_f32 v[32:33], v[134:135], s[10:11], v[136:137] neg_lo:[1,0,0] neg_hi:[1,0,0]
	v_pk_fma_f32 v[138:139], v[134:135], s[10:11], v[136:137]
	v_pk_add_f32 v[116:117], v[34:35], v[40:41] neg_lo:[0,1] neg_hi:[0,1]
	v_mov_b32_e32 v33, v139
	v_pk_add_f32 v[0:1], v[32:33], v[0:1]
	v_mov_b32_e32 v32, v108
	v_mov_b32_e32 v33, v116
	;; [unrolled: 1-line block ×4, first 2 shown]
	v_pk_mul_f32 v[142:143], v[32:33], s[34:35]
	v_pk_add_f32 v[118:119], v[38:39], v[36:37]
	v_pk_fma_f32 v[32:33], v[140:141], s[12:13], v[142:143] neg_lo:[1,0,0] neg_hi:[1,0,0]
	v_pk_fma_f32 v[144:145], v[140:141], s[12:13], v[142:143]
	v_pk_add_f32 v[120:121], v[36:37], v[38:39] neg_lo:[0,1] neg_hi:[0,1]
	v_mov_b32_e32 v33, v145
	v_pk_fma_f32 v[122:123], v[122:123], s[0:1], v[124:125] neg_lo:[0,0,1] neg_hi:[0,0,1]
	v_pk_add_f32 v[0:1], v[32:33], v[0:1]
	v_mov_b32_e32 v32, v118
	v_mov_b32_e32 v33, v120
	;; [unrolled: 1-line block ×3, first 2 shown]
	v_pk_fma_f32 v[122:123], v[128:129], s[20:21], v[130:131] neg_lo:[0,0,1] neg_hi:[0,0,1]
	v_mov_b32_e32 v146, v121
	v_mov_b32_e32 v147, v119
	v_pk_mul_f32 v[148:149], v[32:33], s[36:37]
	v_mov_b32_e32 v133, v123
	v_pk_add_f32 v[122:123], v[24:25], v[126:127]
	v_pk_fma_f32 v[124:125], v[134:135], s[10:11], v[136:137] neg_lo:[0,0,1] neg_hi:[0,0,1]
	v_pk_fma_f32 v[32:33], v[146:147], s[14:15], v[148:149] neg_lo:[1,0,0] neg_hi:[1,0,0]
	v_pk_fma_f32 v[150:151], v[146:147], s[14:15], v[148:149]
	v_pk_add_f32 v[122:123], v[132:133], v[122:123]
	v_mov_b32_e32 v139, v125
	v_pk_fma_f32 v[124:125], v[140:141], s[12:13], v[142:143] neg_lo:[0,0,1] neg_hi:[0,0,1]
	v_pk_mul_f32 v[30:31], v[94:95], s[12:13] op_sel_hi:[1,0]
	v_mov_b32_e32 v33, v151
	v_pk_add_f32 v[122:123], v[138:139], v[122:123]
	v_mov_b32_e32 v145, v125
	v_pk_fma_f32 v[124:125], v[146:147], s[14:15], v[148:149] neg_lo:[0,0,1] neg_hi:[0,0,1]
	v_mov_b32_e32 v42, v28
	v_mov_b32_e32 v43, v27
	v_pk_add_f32 v[0:1], v[32:33], v[0:1]
	v_pk_fma_f32 v[32:33], v[102:103], s[38:39], v[30:31] op_sel:[0,0,1] op_sel_hi:[1,0,0]
	v_pk_fma_f32 v[30:31], v[102:103], s[38:39], v[30:31] op_sel:[0,0,1] op_sel_hi:[1,0,0] neg_lo:[0,0,1] neg_hi:[0,0,1]
	v_pk_add_f32 v[122:123], v[144:145], v[122:123]
	v_mov_b32_e32 v151, v125
	v_mov_b32_e32 v34, v32
	;; [unrolled: 1-line block ×3, first 2 shown]
	v_pk_add_f32 v[36:37], v[24:25], v[42:43]
	v_pk_add_f32 v[122:123], v[150:151], v[122:123]
	s_mov_b32 s28, s15
	v_pk_add_f32 v[38:39], v[34:35], v[36:37]
	v_pk_mul_f32 v[34:35], v[106:107], s[24:25] op_sel_hi:[1,0]
	s_mov_b32 s26, s11
	s_barrier
	ds_write2_b64 v83, v[96:97], v[122:123] offset1:1
	v_pk_mul_f32 v[96:97], v[100:101], s[10:11] op_sel_hi:[1,0]
	v_pk_fma_f32 v[36:37], v[104:105], s[28:29], v[34:35] op_sel:[0,0,1] op_sel_hi:[1,0,0]
	v_pk_fma_f32 v[34:35], v[104:105], s[28:29], v[34:35] op_sel:[0,0,1] op_sel_hi:[1,0,0] neg_lo:[0,0,1] neg_hi:[0,0,1]
	v_pk_fma_f32 v[122:123], v[98:99], s[26:27], v[96:97] op_sel:[0,0,1] op_sel_hi:[1,0,0]
	v_pk_fma_f32 v[124:125], v[98:99], s[26:27], v[96:97] op_sel:[0,0,1] op_sel_hi:[1,0,0] neg_lo:[0,0,1] neg_hi:[0,0,1]
	v_pk_mul_f32 v[126:127], v[94:95], s[24:25] op_sel_hi:[1,0]
	v_mov_b32_e32 v40, v36
	v_mov_b32_e32 v41, v35
	;; [unrolled: 1-line block ×4, first 2 shown]
	v_pk_fma_f32 v[128:129], v[102:103], s[28:29], v[126:127] op_sel:[0,0,1] op_sel_hi:[1,0,0]
	v_pk_fma_f32 v[126:127], v[102:103], s[28:29], v[126:127] op_sel:[0,0,1] op_sel_hi:[1,0,0] neg_lo:[0,0,1] neg_hi:[0,0,1]
	v_pk_mul_f32 v[132:133], v[106:107], s[18:19] op_sel_hi:[1,0]
	v_pk_add_f32 v[42:43], v[40:41], v[38:39]
	v_pk_mul_f32 v[38:39], v[116:117], s[22:23] op_sel_hi:[1,0]
	s_mov_b32 s30, s1
	v_mov_b32_e32 v130, v128
	v_mov_b32_e32 v131, v127
	v_pk_fma_f32 v[134:135], v[104:105], s[8:9], v[132:133] op_sel:[0,0,1] op_sel_hi:[1,0,0]
	v_pk_fma_f32 v[132:133], v[104:105], s[8:9], v[132:133] op_sel:[0,0,1] op_sel_hi:[1,0,0] neg_lo:[0,0,1] neg_hi:[0,0,1]
	v_pk_mul_f32 v[138:139], v[116:117], s[0:1] op_sel_hi:[1,0]
	v_pk_add_f32 v[96:97], v[24:25], v[96:97]
	v_pk_fma_f32 v[40:41], v[108:109], s[26:27], v[38:39] op_sel:[0,0,1] op_sel_hi:[1,0,0]
	v_pk_fma_f32 v[38:39], v[108:109], s[26:27], v[38:39] op_sel:[0,0,1] op_sel_hi:[1,0,0] neg_lo:[0,0,1] neg_hi:[0,0,1]
	v_mov_b32_e32 v136, v134
	v_mov_b32_e32 v137, v133
	v_pk_fma_f32 v[140:141], v[108:109], s[30:31], v[138:139] op_sel:[0,0,1] op_sel_hi:[1,0,0]
	v_pk_fma_f32 v[138:139], v[108:109], s[30:31], v[138:139] op_sel:[0,0,1] op_sel_hi:[1,0,0] neg_lo:[0,0,1] neg_hi:[0,0,1]
	v_pk_add_f32 v[96:97], v[130:131], v[96:97]
	v_mov_b32_e32 v92, v40
	v_mov_b32_e32 v93, v39
	;; [unrolled: 1-line block ×4, first 2 shown]
	v_pk_add_f32 v[96:97], v[136:137], v[96:97]
	v_pk_add_f32 v[152:153], v[92:93], v[42:43]
	v_pk_mul_f32 v[92:93], v[120:121], s[16:17] op_sel_hi:[1,0]
	v_pk_add_f32 v[96:97], v[130:131], v[96:97]
	v_pk_mul_f32 v[130:131], v[120:121], s[12:13] op_sel_hi:[1,0]
	v_pk_fma_f32 v[42:43], v[118:119], s[30:31], v[92:93] op_sel:[0,0,1] op_sel_hi:[1,0,0]
	v_pk_fma_f32 v[92:93], v[118:119], s[30:31], v[92:93] op_sel:[0,0,1] op_sel_hi:[1,0,0] neg_lo:[0,0,1] neg_hi:[0,0,1]
	v_pk_fma_f32 v[136:137], v[118:119], s[38:39], v[130:131] op_sel:[0,0,1] op_sel_hi:[1,0,0]
	v_pk_fma_f32 v[130:131], v[118:119], s[38:39], v[130:131] op_sel:[0,0,1] op_sel_hi:[1,0,0] neg_lo:[0,0,1] neg_hi:[0,0,1]
	v_mov_b32_e32 v154, v42
	v_mov_b32_e32 v155, v93
	;; [unrolled: 1-line block ×4, first 2 shown]
	v_pk_add_f32 v[152:153], v[154:155], v[152:153]
	v_pk_add_f32 v[96:97], v[142:143], v[96:97]
	ds_write2_b64 v83, v[152:153], v[96:97] offset0:2 offset1:3
	v_pk_mul_f32 v[96:97], v[100:101], s[12:13] op_sel_hi:[1,0]
	v_pk_mul_f32 v[146:147], v[94:95], s[22:23] op_sel_hi:[1,0]
	v_pk_fma_f32 v[142:143], v[98:99], s[38:39], v[96:97] op_sel:[0,0,1] op_sel_hi:[1,0,0]
	v_pk_fma_f32 v[144:145], v[98:99], s[38:39], v[96:97] op_sel:[0,0,1] op_sel_hi:[1,0,0] neg_lo:[0,0,1] neg_hi:[0,0,1]
	v_mov_b32_e32 v96, v142
	v_mov_b32_e32 v97, v145
	v_pk_fma_f32 v[148:149], v[102:103], s[26:27], v[146:147] op_sel:[0,0,1] op_sel_hi:[1,0,0]
	v_pk_fma_f32 v[146:147], v[102:103], s[26:27], v[146:147] op_sel:[0,0,1] op_sel_hi:[1,0,0] neg_lo:[0,0,1] neg_hi:[0,0,1]
	v_mov_b32_e32 v150, v148
	v_mov_b32_e32 v151, v147
	v_pk_add_f32 v[96:97], v[24:25], v[96:97]
	v_pk_mul_f32 v[100:101], v[100:101], s[14:15] op_sel_hi:[1,0]
	v_pk_add_f32 v[96:97], v[150:151], v[96:97]
	v_pk_mul_f32 v[150:151], v[106:107], s[0:1] op_sel_hi:[1,0]
	v_pk_mul_f32 v[94:95], v[94:95], s[16:17] op_sel_hi:[1,0]
	v_pk_fma_f32 v[152:153], v[104:105], s[30:31], v[150:151] op_sel:[0,0,1] op_sel_hi:[1,0,0]
	v_pk_fma_f32 v[150:151], v[104:105], s[30:31], v[150:151] op_sel:[0,0,1] op_sel_hi:[1,0,0] neg_lo:[0,0,1] neg_hi:[0,0,1]
	v_mov_b32_e32 v154, v152
	v_mov_b32_e32 v155, v151
	v_pk_add_f32 v[96:97], v[154:155], v[96:97]
	v_pk_mul_f32 v[154:155], v[116:117], s[14:15] op_sel_hi:[1,0]
	v_mov_b32_e32 v145, v143
	v_pk_fma_f32 v[156:157], v[108:109], s[28:29], v[154:155] op_sel:[0,0,1] op_sel_hi:[1,0,0]
	v_pk_fma_f32 v[154:155], v[108:109], s[28:29], v[154:155] op_sel:[0,0,1] op_sel_hi:[1,0,0] neg_lo:[0,0,1] neg_hi:[0,0,1]
	v_mov_b32_e32 v158, v156
	v_mov_b32_e32 v159, v155
	v_pk_add_f32 v[96:97], v[158:159], v[96:97]
	v_pk_mul_f32 v[158:159], v[120:121], s[18:19] op_sel_hi:[1,0]
	v_pk_mul_f32 v[120:121], v[120:121], s[10:11] op_sel_hi:[1,0]
	v_pk_fma_f32 v[160:161], v[118:119], s[8:9], v[158:159] op_sel:[0,0,1] op_sel_hi:[1,0,0]
	v_pk_fma_f32 v[158:159], v[118:119], s[8:9], v[158:159] op_sel:[0,0,1] op_sel_hi:[1,0,0] neg_lo:[0,0,1] neg_hi:[0,0,1]
	v_mov_b32_e32 v162, v160
	v_mov_b32_e32 v163, v159
	v_pk_add_f32 v[96:97], v[162:163], v[96:97]
	v_pk_fma_f32 v[162:163], v[98:99], s[28:29], v[100:101] op_sel:[0,0,1] op_sel_hi:[1,0,0]
	v_pk_fma_f32 v[98:99], v[98:99], s[28:29], v[100:101] op_sel:[0,0,1] op_sel_hi:[1,0,0] neg_lo:[0,0,1] neg_hi:[0,0,1]
	v_pk_fma_f32 v[100:101], v[102:103], s[30:31], v[94:95] op_sel:[0,0,1] op_sel_hi:[1,0,0]
	v_pk_fma_f32 v[94:95], v[102:103], s[30:31], v[94:95] op_sel:[0,0,1] op_sel_hi:[1,0,0] neg_lo:[0,0,1] neg_hi:[0,0,1]
	v_pk_mul_f32 v[102:103], v[106:107], s[12:13] op_sel_hi:[1,0]
	v_mov_b32_e32 v164, v100
	v_pk_fma_f32 v[106:107], v[104:105], s[38:39], v[102:103] op_sel:[0,0,1] op_sel_hi:[1,0,0]
	v_pk_fma_f32 v[102:103], v[104:105], s[38:39], v[102:103] op_sel:[0,0,1] op_sel_hi:[1,0,0] neg_lo:[0,0,1] neg_hi:[0,0,1]
	v_pk_mul_f32 v[104:105], v[116:117], s[18:19] op_sel_hi:[1,0]
	v_mov_b32_e32 v165, v95
	v_pk_fma_f32 v[116:117], v[108:109], s[8:9], v[104:105] op_sel:[0,0,1] op_sel_hi:[1,0,0]
	v_pk_fma_f32 v[104:105], v[108:109], s[8:9], v[104:105] op_sel:[0,0,1] op_sel_hi:[1,0,0] neg_lo:[0,0,1] neg_hi:[0,0,1]
	v_mov_b32_e32 v108, v162
	v_mov_b32_e32 v109, v99
	v_pk_add_f32 v[108:109], v[24:25], v[108:109]
	v_mov_b32_e32 v99, v163
	v_pk_add_f32 v[108:109], v[164:165], v[108:109]
	v_mov_b32_e32 v164, v106
	v_mov_b32_e32 v165, v103
	v_pk_add_f32 v[108:109], v[164:165], v[108:109]
	v_mov_b32_e32 v164, v116
	v_mov_b32_e32 v165, v105
	v_pk_add_f32 v[108:109], v[164:165], v[108:109]
	v_pk_fma_f32 v[164:165], v[118:119], s[26:27], v[120:121] op_sel:[0,0,1] op_sel_hi:[1,0,0]
	v_pk_fma_f32 v[118:119], v[118:119], s[26:27], v[120:121] op_sel:[0,0,1] op_sel_hi:[1,0,0] neg_lo:[0,0,1] neg_hi:[0,0,1]
	v_mov_b32_e32 v120, v164
	v_mov_b32_e32 v121, v119
	v_pk_add_f32 v[108:109], v[120:121], v[108:109]
	ds_write2_b64 v83, v[96:97], v[108:109] offset0:4 offset1:5
	v_mov_b32_e32 v95, v101
	v_mov_b32_e32 v103, v107
	v_pk_add_f32 v[96:97], v[24:25], v[98:99]
	v_mov_b32_e32 v147, v149
	v_pk_add_f32 v[106:107], v[24:25], v[144:145]
	v_pk_add_f32 v[94:95], v[94:95], v[96:97]
	v_mov_b32_e32 v151, v153
	v_pk_add_f32 v[106:107], v[146:147], v[106:107]
	v_mov_b32_e32 v105, v117
	;; [unrolled: 2-line block ×3, first 2 shown]
	v_pk_add_f32 v[106:107], v[150:151], v[106:107]
	v_pk_add_f32 v[94:95], v[104:105], v[94:95]
	v_mov_b32_e32 v119, v165
	v_pk_add_f32 v[106:107], v[154:155], v[106:107]
	v_mov_b32_e32 v159, v161
	v_pk_add_f32 v[94:95], v[118:119], v[94:95]
	v_pk_add_f32 v[106:107], v[158:159], v[106:107]
	v_mov_b32_e32 v125, v123
	v_mov_b32_e32 v27, v29
	ds_write2_b64 v83, v[94:95], v[106:107] offset0:6 offset1:7
	v_mov_b32_e32 v127, v129
	v_pk_add_f32 v[94:95], v[24:25], v[124:125]
	v_mov_b32_e32 v31, v33
	v_pk_add_f32 v[24:25], v[24:25], v[26:27]
	;; [unrolled: 2-line block ×6, first 2 shown]
	v_pk_add_f32 v[94:95], v[138:139], v[94:95]
	v_mov_b32_e32 v131, v137
	v_pk_add_f32 v[24:25], v[38:39], v[24:25]
	v_mov_b32_e32 v93, v43
	v_pk_add_f32 v[94:95], v[130:131], v[94:95]
	v_pk_add_f32 v[24:25], v[92:93], v[24:25]
	ds_write2_b64 v83, v[94:95], v[24:25] offset0:8 offset1:9
	ds_write_b64 v83, v[0:1] offset:80
	s_waitcnt lgkmcnt(0)
	s_barrier
	ds_read2_b64 v[40:43], v55 offset1:22
	ds_read2_b64 v[24:27], v55 offset0:88 offset1:121
	ds_read2_b64 v[36:39], v55 offset0:143 offset1:165
	;; [unrolled: 1-line block ×4, first 2 shown]
	v_mov_b32_e32 v100, v74
	v_mov_b32_e32 v101, v74
	;; [unrolled: 1-line block ×19, first 2 shown]
	s_and_saveexec_b64 s[0:1], vcc
	s_cbranch_execz .LBB0_7
; %bb.6:
	ds_read2_b64 v[0:3], v55 offset0:110 offset1:231
.LBB0_7:
	s_or_b64 exec, exec, s[0:1]
	s_waitcnt lgkmcnt(3)
	v_pk_mul_f32 v[74:75], v[74:75], v[26:27]
	s_waitcnt lgkmcnt(2)
	v_pk_mul_f32 v[72:73], v[72:73], v[36:37]
	v_pk_fma_f32 v[116:117], v[100:101], v[26:27], v[74:75] op_sel:[0,0,1] op_sel_hi:[1,1,0]
	v_pk_fma_f32 v[26:27], v[100:101], v[26:27], v[74:75] op_sel:[0,0,1] op_sel_hi:[1,1,0] neg_lo:[0,0,1] neg_hi:[0,0,1]
	s_waitcnt lgkmcnt(0)
	v_mov_b32_e32 v117, v27
	v_pk_add_f32 v[26:27], v[40:41], v[116:117] neg_lo:[0,1] neg_hi:[0,1]
	s_barrier
	v_pk_fma_f32 v[40:41], v[40:41], 2.0, v[26:27] op_sel_hi:[1,0,1] neg_lo:[0,0,1] neg_hi:[0,0,1]
	ds_write2_b64 v111, v[40:41], v[26:27] offset1:11
	v_pk_fma_f32 v[26:27], v[104:105], v[36:37], v[72:73] op_sel:[0,0,1] op_sel_hi:[1,1,0]
	v_pk_fma_f32 v[36:37], v[104:105], v[36:37], v[72:73] op_sel:[0,0,1] op_sel_hi:[1,1,0] neg_lo:[0,0,1] neg_hi:[0,0,1]
	v_pk_mul_f32 v[76:77], v[76:77], v[38:39]
	v_mov_b32_e32 v27, v37
	v_pk_add_f32 v[26:27], v[42:43], v[26:27] neg_lo:[0,1] neg_hi:[0,1]
	v_pk_mul_f32 v[78:79], v[78:79], v[28:29]
	v_pk_fma_f32 v[36:37], v[42:43], 2.0, v[26:27] op_sel_hi:[1,0,1] neg_lo:[0,0,1] neg_hi:[0,0,1]
	ds_write2_b64 v113, v[36:37], v[26:27] offset1:11
	v_pk_fma_f32 v[26:27], v[102:103], v[38:39], v[76:77] op_sel:[0,0,1] op_sel_hi:[1,1,0]
	v_pk_fma_f32 v[36:37], v[102:103], v[38:39], v[76:77] op_sel:[0,0,1] op_sel_hi:[1,1,0] neg_lo:[0,0,1] neg_hi:[0,0,1]
	v_pk_mul_f32 v[80:81], v[80:81], v[30:31]
	v_mov_b32_e32 v27, v37
	v_pk_add_f32 v[26:27], v[32:33], v[26:27] neg_lo:[0,1] neg_hi:[0,1]
	v_mov_b32_e32 v11, v10
	v_pk_fma_f32 v[32:33], v[32:33], 2.0, v[26:27] op_sel_hi:[1,0,1] neg_lo:[0,0,1] neg_hi:[0,0,1]
	ds_write2_b64 v112, v[32:33], v[26:27] offset1:11
	v_pk_fma_f32 v[26:27], v[98:99], v[28:29], v[78:79] op_sel:[0,0,1] op_sel_hi:[1,1,0]
	v_pk_fma_f32 v[28:29], v[98:99], v[28:29], v[78:79] op_sel:[0,0,1] op_sel_hi:[1,1,0] neg_lo:[0,0,1] neg_hi:[0,0,1]
	v_mov_b32_e32 v91, v90
	v_mov_b32_e32 v27, v29
	v_pk_add_f32 v[26:27], v[34:35], v[26:27] neg_lo:[0,1] neg_hi:[0,1]
	v_mov_b32_e32 v21, v20
	v_pk_fma_f32 v[28:29], v[34:35], 2.0, v[26:27] op_sel_hi:[1,0,1] neg_lo:[0,0,1] neg_hi:[0,0,1]
	ds_write2_b64 v114, v[28:29], v[26:27] offset1:11
	v_pk_fma_f32 v[26:27], v[96:97], v[30:31], v[80:81] op_sel:[0,0,1] op_sel_hi:[1,1,0]
	v_pk_fma_f32 v[28:29], v[96:97], v[30:31], v[80:81] op_sel:[0,0,1] op_sel_hi:[1,1,0] neg_lo:[0,0,1] neg_hi:[0,0,1]
	v_mov_b32_e32 v109, v108
	v_mov_b32_e32 v27, v29
	v_pk_add_f32 v[26:27], v[24:25], v[26:27] neg_lo:[0,1] neg_hi:[0,1]
	v_mov_b32_e32 v23, v22
	v_mov_b32_e32 v89, v88
	;; [unrolled: 1-line block ×14, first 2 shown]
	v_pk_fma_f32 v[24:25], v[24:25], 2.0, v[26:27] op_sel_hi:[1,0,1] neg_lo:[0,0,1] neg_hi:[0,0,1]
	ds_write2_b64 v115, v[24:25], v[26:27] offset1:11
	s_and_saveexec_b64 s[0:1], vcc
	s_cbranch_execz .LBB0_9
; %bb.8:
	v_pk_mul_f32 v[24:25], v[70:71], v[2:3] op_sel:[0,1]
	v_and_b32_e32 v26, 0xff, v49
	v_lshl_add_u32 v28, v26, 3, v110
	v_pk_fma_f32 v[26:27], v[70:71], v[2:3], v[24:25] op_sel:[0,0,1] op_sel_hi:[1,1,0]
	v_pk_fma_f32 v[2:3], v[70:71], v[2:3], v[24:25] op_sel:[0,0,1] op_sel_hi:[1,0,0] neg_lo:[1,0,0] neg_hi:[1,0,0]
	s_nop 0
	v_mov_b32_e32 v27, v3
	v_pk_add_f32 v[2:3], v[0:1], v[26:27] neg_lo:[0,1] neg_hi:[0,1]
	s_nop 0
	v_pk_fma_f32 v[0:1], v[0:1], 2.0, v[2:3] op_sel_hi:[1,0,1] neg_lo:[0,0,1] neg_hi:[0,0,1]
	ds_write2_b64 v28, v[0:1], v[2:3] offset0:220 offset1:231
.LBB0_9:
	s_or_b64 exec, exec, s[0:1]
	s_waitcnt lgkmcnt(0)
	s_barrier
	ds_read2_b64 v[28:31], v55 offset0:44 offset1:66
	ds_read2_b64 v[0:3], v55 offset1:22
	ds_read2_b64 v[32:35], v55 offset0:88 offset1:110
	ds_read2_b64 v[36:39], v55 offset0:132 offset1:154
	;; [unrolled: 1-line block ×3, first 2 shown]
	ds_read_b64 v[70:71], v55 offset:1760
	s_waitcnt lgkmcnt(5)
	v_pk_mul_f32 v[72:73], v[90:91], v[28:29]
	v_mad_u64_u32 v[26:27], s[0:1], s6, v54, 0
	v_pk_fma_f32 v[74:75], v[10:11], v[28:29], v[72:73] op_sel:[0,0,1] op_sel_hi:[1,1,0]
	v_pk_fma_f32 v[10:11], v[10:11], v[28:29], v[72:73] op_sel:[0,0,1] op_sel_hi:[1,1,0] neg_lo:[0,0,1] neg_hi:[0,0,1]
	s_mov_b32 s10, 0xbf0a6770
	v_mov_b32_e32 v75, v11
	v_pk_mul_f32 v[10:11], v[108:109], v[30:31]
	s_mov_b32 s0, 0x3f575c64
	v_pk_fma_f32 v[28:29], v[20:21], v[30:31], v[10:11] op_sel:[0,0,1] op_sel_hi:[1,1,0]
	v_pk_fma_f32 v[10:11], v[20:21], v[30:31], v[10:11] op_sel:[0,0,1] op_sel_hi:[1,1,0] neg_lo:[0,0,1] neg_hi:[0,0,1]
	s_mov_b32 s20, 0xbf68dda4
	v_mov_b32_e32 v29, v11
	s_waitcnt lgkmcnt(3)
	v_pk_mul_f32 v[10:11], v[88:89], v[32:33]
	v_mov_b32_e32 v24, s2
	v_pk_fma_f32 v[20:21], v[22:23], v[32:33], v[10:11] op_sel:[0,0,1] op_sel_hi:[1,1,0]
	v_pk_fma_f32 v[10:11], v[22:23], v[32:33], v[10:11] op_sel:[0,0,1] op_sel_hi:[1,1,0] neg_lo:[0,0,1] neg_hi:[0,0,1]
	s_mov_b32 s2, 0x3ed4b147
	v_mov_b32_e32 v21, v11
	v_pk_mul_f32 v[10:11], v[106:107], v[34:35]
	s_mov_b32 s8, 0xbf7d64f0
	v_pk_fma_f32 v[22:23], v[12:13], v[34:35], v[10:11] op_sel:[0,0,1] op_sel_hi:[1,1,0]
	v_pk_fma_f32 v[10:11], v[12:13], v[34:35], v[10:11] op_sel:[0,0,1] op_sel_hi:[1,1,0] neg_lo:[0,0,1] neg_hi:[0,0,1]
	s_mov_b32 s6, 0xbe11bafb
	v_mov_b32_e32 v23, v11
	s_waitcnt lgkmcnt(2)
	v_pk_mul_f32 v[10:11], v[86:87], v[36:37]
	s_mov_b32 s14, 0xbf4178ce
	v_pk_fma_f32 v[12:13], v[14:15], v[36:37], v[10:11] op_sel:[0,0,1] op_sel_hi:[1,1,0]
	v_pk_fma_f32 v[10:11], v[14:15], v[36:37], v[10:11] op_sel:[0,0,1] op_sel_hi:[1,1,0] neg_lo:[0,0,1] neg_hi:[0,0,1]
	s_mov_b32 s12, 0xbf27a4f4
	v_mov_b32_e32 v13, v11
	v_pk_mul_f32 v[10:11], v[94:95], v[38:39]
	s_mov_b32 s18, 0xbe903f40
	v_pk_fma_f32 v[14:15], v[4:5], v[38:39], v[10:11] op_sel:[0,0,1] op_sel_hi:[1,1,0]
	v_pk_fma_f32 v[4:5], v[4:5], v[38:39], v[10:11] op_sel:[0,0,1] op_sel_hi:[1,1,0] neg_lo:[0,0,1] neg_hi:[0,0,1]
	s_mov_b32 s16, 0xbf75a155
	v_mov_b32_e32 v15, v5
	s_waitcnt lgkmcnt(1)
	v_pk_mul_f32 v[4:5], v[84:85], v[40:41]
	s_mov_b32 s24, 0x3f0a6770
	v_pk_fma_f32 v[10:11], v[6:7], v[40:41], v[4:5] op_sel:[0,0,1] op_sel_hi:[1,1,0]
	v_pk_fma_f32 v[4:5], v[6:7], v[40:41], v[4:5] op_sel:[0,0,1] op_sel_hi:[1,1,0] neg_lo:[0,0,1] neg_hi:[0,0,1]
	v_mov_b32_e32 v25, s3
	v_mov_b32_e32 v11, v5
	v_pk_mul_f32 v[4:5], v[92:93], v[42:43]
	s_nop 0
	v_pk_fma_f32 v[6:7], v[16:17], v[42:43], v[4:5] op_sel:[0,0,1] op_sel_hi:[1,1,0]
	v_pk_fma_f32 v[4:5], v[16:17], v[42:43], v[4:5] op_sel:[0,0,1] op_sel_hi:[1,1,0] neg_lo:[0,0,1] neg_hi:[0,0,1]
	s_nop 0
	v_mov_b32_e32 v7, v5
	s_waitcnt lgkmcnt(0)
	v_pk_mul_f32 v[4:5], v[82:83], v[70:71]
	v_pk_add_f32 v[32:33], v[74:75], v[6:7]
	v_pk_fma_f32 v[16:17], v[18:19], v[70:71], v[4:5] op_sel:[0,0,1] op_sel_hi:[1,1,0]
	v_pk_fma_f32 v[4:5], v[18:19], v[70:71], v[4:5] op_sel:[0,0,1] op_sel_hi:[1,1,0] neg_lo:[0,0,1] neg_hi:[0,0,1]
	s_nop 0
	v_mov_b32_e32 v17, v5
	v_pk_mul_f32 v[4:5], v[8:9], v[2:3] op_sel:[1,0]
	s_nop 0
	v_pk_fma_f32 v[18:19], v[8:9], v[2:3], v[4:5] op_sel:[0,0,1] op_sel_hi:[1,1,0]
	v_pk_fma_f32 v[2:3], v[8:9], v[2:3], v[4:5] op_sel:[0,0,1] op_sel_hi:[0,1,0] neg_lo:[0,0,1] neg_hi:[0,0,1]
	v_mov_b32_e32 v19, v3
	v_pk_add_f32 v[2:3], v[0:1], v[18:19]
	v_pk_add_f32 v[8:9], v[18:19], v[16:17] neg_lo:[0,1] neg_hi:[0,1]
	v_pk_add_f32 v[2:3], v[2:3], v[74:75]
	v_pk_add_f32 v[4:5], v[18:19], v[16:17]
	;; [unrolled: 1-line block ×3, first 2 shown]
	s_nop 0
	v_pk_add_f32 v[2:3], v[2:3], v[20:21]
	s_nop 0
	v_pk_add_f32 v[2:3], v[2:3], v[22:23]
	;; [unrolled: 2-line block ×6, first 2 shown]
	v_pk_add_f32 v[6:7], v[74:75], v[6:7] neg_lo:[0,1] neg_hi:[0,1]
	v_pk_add_f32 v[2:3], v[2:3], v[16:17]
	v_pk_mul_f32 v[16:17], v[8:9], s[10:11] op_sel_hi:[1,0]
	v_pk_mul_f32 v[34:35], v[6:7], s[20:21] op_sel_hi:[1,0]
	v_pk_fma_f32 v[18:19], v[4:5], s[0:1], v[16:17] op_sel:[0,0,1] op_sel_hi:[1,0,0]
	v_pk_fma_f32 v[16:17], v[4:5], s[0:1], v[16:17] op_sel:[0,0,1] op_sel_hi:[1,0,0] neg_lo:[0,0,1] neg_hi:[0,0,1]
	v_mov_b32_e32 v30, v18
	v_mov_b32_e32 v31, v17
	v_pk_fma_f32 v[36:37], v[32:33], s[2:3], v[34:35] op_sel:[0,0,1] op_sel_hi:[1,0,0]
	v_pk_fma_f32 v[34:35], v[32:33], s[2:3], v[34:35] op_sel:[0,0,1] op_sel_hi:[1,0,0] neg_lo:[0,0,1] neg_hi:[0,0,1]
	v_pk_add_f32 v[30:31], v[0:1], v[30:31]
	v_mov_b32_e32 v38, v36
	v_mov_b32_e32 v39, v35
	v_pk_add_f32 v[30:31], v[38:39], v[30:31]
	v_pk_add_f32 v[38:39], v[28:29], v[10:11]
	v_pk_add_f32 v[10:11], v[28:29], v[10:11] neg_lo:[0,1] neg_hi:[0,1]
	v_pk_mul_f32 v[78:79], v[6:7], s[14:15] op_sel_hi:[1,0]
	v_pk_mul_f32 v[28:29], v[10:11], s[8:9] op_sel_hi:[1,0]
	v_pk_fma_f32 v[80:81], v[32:33], s[12:13], v[78:79] op_sel:[0,0,1] op_sel_hi:[1,0,0]
	v_pk_fma_f32 v[40:41], v[38:39], s[6:7], v[28:29] op_sel:[0,0,1] op_sel_hi:[1,0,0]
	v_pk_fma_f32 v[28:29], v[38:39], s[6:7], v[28:29] op_sel:[0,0,1] op_sel_hi:[1,0,0] neg_lo:[0,0,1] neg_hi:[0,0,1]
	v_mov_b32_e32 v42, v40
	v_mov_b32_e32 v43, v29
	v_pk_add_f32 v[30:31], v[42:43], v[30:31]
	v_pk_add_f32 v[42:43], v[20:21], v[14:15]
	v_pk_add_f32 v[14:15], v[20:21], v[14:15] neg_lo:[0,1] neg_hi:[0,1]
	v_pk_fma_f32 v[78:79], v[32:33], s[12:13], v[78:79] op_sel:[0,0,1] op_sel_hi:[1,0,0] neg_lo:[0,0,1] neg_hi:[0,0,1]
	v_pk_mul_f32 v[20:21], v[14:15], s[14:15] op_sel_hi:[1,0]
	v_mov_b32_e32 v82, v80
	v_pk_fma_f32 v[70:71], v[42:43], s[12:13], v[20:21] op_sel:[0,0,1] op_sel_hi:[1,0,0]
	v_pk_fma_f32 v[20:21], v[42:43], s[12:13], v[20:21] op_sel:[0,0,1] op_sel_hi:[1,0,0] neg_lo:[0,0,1] neg_hi:[0,0,1]
	v_mov_b32_e32 v72, v70
	v_mov_b32_e32 v73, v21
	v_pk_add_f32 v[30:31], v[72:73], v[30:31]
	v_pk_add_f32 v[72:73], v[22:23], v[12:13]
	v_pk_add_f32 v[12:13], v[22:23], v[12:13] neg_lo:[0,1] neg_hi:[0,1]
	v_mov_b32_e32 v83, v79
	v_pk_mul_f32 v[22:23], v[12:13], s[18:19] op_sel_hi:[1,0]
	v_pk_mul_f32 v[118:119], v[6:7], s[22:23] op_sel_hi:[1,0]
	v_pk_fma_f32 v[74:75], v[72:73], s[16:17], v[22:23] op_sel:[0,0,1] op_sel_hi:[1,0,0]
	v_pk_fma_f32 v[22:23], v[72:73], s[16:17], v[22:23] op_sel:[0,0,1] op_sel_hi:[1,0,0] neg_lo:[0,0,1] neg_hi:[0,0,1]
	v_mov_b32_e32 v76, v74
	v_mov_b32_e32 v77, v23
	v_pk_add_f32 v[30:31], v[76:77], v[30:31]
	ds_write2_b64 v55, v[2:3], v[30:31] offset1:22
	v_pk_mul_f32 v[2:3], v[8:9], s[20:21] op_sel_hi:[1,0]
	s_mov_b32 s20, 0x3e903f40
	v_pk_fma_f32 v[30:31], v[4:5], s[2:3], v[2:3] op_sel:[0,0,1] op_sel_hi:[1,0,0]
	v_pk_fma_f32 v[2:3], v[4:5], s[2:3], v[2:3] op_sel:[0,0,1] op_sel_hi:[1,0,0] neg_lo:[0,0,1] neg_hi:[0,0,1]
	v_mov_b32_e32 v76, v30
	v_mov_b32_e32 v77, v3
	v_pk_add_f32 v[76:77], v[0:1], v[76:77]
	v_pk_mul_f32 v[100:101], v[6:7], s[20:21] op_sel_hi:[1,0]
	v_pk_add_f32 v[76:77], v[82:83], v[76:77]
	v_pk_mul_f32 v[82:83], v[10:11], s[20:21] op_sel_hi:[1,0]
	v_pk_fma_f32 v[102:103], v[32:33], s[16:17], v[100:101] op_sel:[0,0,1] op_sel_hi:[1,0,0]
	v_pk_fma_f32 v[84:85], v[38:39], s[16:17], v[82:83] op_sel:[0,0,1] op_sel_hi:[1,0,0]
	v_pk_fma_f32 v[82:83], v[38:39], s[16:17], v[82:83] op_sel:[0,0,1] op_sel_hi:[1,0,0] neg_lo:[0,0,1] neg_hi:[0,0,1]
	v_mov_b32_e32 v86, v84
	v_mov_b32_e32 v87, v83
	v_pk_add_f32 v[76:77], v[86:87], v[76:77]
	v_pk_mul_f32 v[86:87], v[14:15], s[22:23] op_sel_hi:[1,0]
	v_pk_fma_f32 v[100:101], v[32:33], s[16:17], v[100:101] op_sel:[0,0,1] op_sel_hi:[1,0,0] neg_lo:[0,0,1] neg_hi:[0,0,1]
	v_pk_fma_f32 v[88:89], v[42:43], s[6:7], v[86:87] op_sel:[0,0,1] op_sel_hi:[1,0,0]
	v_pk_fma_f32 v[86:87], v[42:43], s[6:7], v[86:87] op_sel:[0,0,1] op_sel_hi:[1,0,0] neg_lo:[0,0,1] neg_hi:[0,0,1]
	v_mov_b32_e32 v90, v88
	v_mov_b32_e32 v91, v87
	v_pk_add_f32 v[76:77], v[90:91], v[76:77]
	v_pk_mul_f32 v[90:91], v[12:13], s[24:25] op_sel_hi:[1,0]
	v_mov_b32_e32 v104, v102
	v_pk_fma_f32 v[92:93], v[72:73], s[0:1], v[90:91] op_sel:[0,0,1] op_sel_hi:[1,0,0]
	v_pk_fma_f32 v[90:91], v[72:73], s[0:1], v[90:91] op_sel:[0,0,1] op_sel_hi:[1,0,0] neg_lo:[0,0,1] neg_hi:[0,0,1]
	v_mov_b32_e32 v94, v92
	v_mov_b32_e32 v95, v91
	v_pk_add_f32 v[76:77], v[94:95], v[76:77]
	v_pk_mul_f32 v[94:95], v[8:9], s[8:9] op_sel_hi:[1,0]
	v_mov_b32_e32 v105, v101
	v_pk_fma_f32 v[96:97], v[4:5], s[6:7], v[94:95] op_sel:[0,0,1] op_sel_hi:[1,0,0]
	v_pk_fma_f32 v[94:95], v[4:5], s[6:7], v[94:95] op_sel:[0,0,1] op_sel_hi:[1,0,0] neg_lo:[0,0,1] neg_hi:[0,0,1]
	v_mov_b32_e32 v98, v96
	v_mov_b32_e32 v99, v95
	v_pk_add_f32 v[98:99], v[0:1], v[98:99]
	s_mov_b32 s20, 0x3f68dda4
	v_pk_add_f32 v[98:99], v[104:105], v[98:99]
	v_pk_mul_f32 v[104:105], v[10:11], s[20:21] op_sel_hi:[1,0]
	v_pk_fma_f32 v[120:121], v[32:33], s[6:7], v[118:119] op_sel:[0,0,1] op_sel_hi:[1,0,0]
	v_pk_fma_f32 v[106:107], v[38:39], s[2:3], v[104:105] op_sel:[0,0,1] op_sel_hi:[1,0,0]
	v_pk_fma_f32 v[104:105], v[38:39], s[2:3], v[104:105] op_sel:[0,0,1] op_sel_hi:[1,0,0] neg_lo:[0,0,1] neg_hi:[0,0,1]
	v_mov_b32_e32 v108, v106
	v_mov_b32_e32 v109, v105
	v_pk_add_f32 v[98:99], v[108:109], v[98:99]
	v_pk_mul_f32 v[108:109], v[14:15], s[10:11] op_sel_hi:[1,0]
	v_pk_fma_f32 v[118:119], v[32:33], s[6:7], v[118:119] op_sel:[0,0,1] op_sel_hi:[1,0,0] neg_lo:[0,0,1] neg_hi:[0,0,1]
	v_pk_fma_f32 v[110:111], v[42:43], s[0:1], v[108:109] op_sel:[0,0,1] op_sel_hi:[1,0,0]
	v_pk_fma_f32 v[108:109], v[42:43], s[0:1], v[108:109] op_sel:[0,0,1] op_sel_hi:[1,0,0] neg_lo:[0,0,1] neg_hi:[0,0,1]
	v_mov_b32_e32 v112, v110
	v_mov_b32_e32 v113, v109
	v_pk_add_f32 v[98:99], v[112:113], v[98:99]
	v_pk_mul_f32 v[112:113], v[12:13], s[14:15] op_sel_hi:[1,0]
	v_mov_b32_e32 v122, v120
	v_pk_fma_f32 v[114:115], v[72:73], s[12:13], v[112:113] op_sel:[0,0,1] op_sel_hi:[1,0,0]
	v_pk_fma_f32 v[112:113], v[72:73], s[12:13], v[112:113] op_sel:[0,0,1] op_sel_hi:[1,0,0] neg_lo:[0,0,1] neg_hi:[0,0,1]
	v_mov_b32_e32 v116, v114
	v_mov_b32_e32 v117, v113
	v_pk_add_f32 v[98:99], v[116:117], v[98:99]
	ds_write2_b64 v55, v[76:77], v[98:99] offset0:44 offset1:66
	v_pk_mul_f32 v[76:77], v[8:9], s[14:15] op_sel_hi:[1,0]
	v_mov_b32_e32 v123, v119
	v_pk_fma_f32 v[98:99], v[4:5], s[12:13], v[76:77] op_sel:[0,0,1] op_sel_hi:[1,0,0]
	v_pk_fma_f32 v[76:77], v[4:5], s[12:13], v[76:77] op_sel:[0,0,1] op_sel_hi:[1,0,0] neg_lo:[0,0,1] neg_hi:[0,0,1]
	v_mov_b32_e32 v116, v98
	v_mov_b32_e32 v117, v77
	v_pk_add_f32 v[116:117], v[0:1], v[116:117]
	v_pk_mul_f32 v[8:9], v[8:9], s[18:19] op_sel_hi:[1,0]
	v_pk_add_f32 v[116:117], v[122:123], v[116:117]
	v_pk_mul_f32 v[122:123], v[10:11], s[10:11] op_sel_hi:[1,0]
	v_pk_mul_f32 v[6:7], v[6:7], s[24:25] op_sel_hi:[1,0]
	v_pk_fma_f32 v[124:125], v[38:39], s[0:1], v[122:123] op_sel:[0,0,1] op_sel_hi:[1,0,0]
	v_pk_fma_f32 v[122:123], v[38:39], s[0:1], v[122:123] op_sel:[0,0,1] op_sel_hi:[1,0,0] neg_lo:[0,0,1] neg_hi:[0,0,1]
	v_mov_b32_e32 v126, v124
	v_mov_b32_e32 v127, v123
	v_pk_add_f32 v[116:117], v[126:127], v[116:117]
	v_pk_mul_f32 v[126:127], v[14:15], s[18:19] op_sel_hi:[1,0]
	v_pk_fma_f32 v[136:137], v[32:33], s[0:1], v[6:7] op_sel:[0,0,1] op_sel_hi:[1,0,0]
	v_pk_fma_f32 v[128:129], v[42:43], s[16:17], v[126:127] op_sel:[0,0,1] op_sel_hi:[1,0,0]
	v_pk_fma_f32 v[126:127], v[42:43], s[16:17], v[126:127] op_sel:[0,0,1] op_sel_hi:[1,0,0] neg_lo:[0,0,1] neg_hi:[0,0,1]
	v_mov_b32_e32 v130, v128
	v_mov_b32_e32 v131, v127
	v_pk_add_f32 v[116:117], v[130:131], v[116:117]
	v_pk_mul_f32 v[130:131], v[12:13], s[20:21] op_sel_hi:[1,0]
	v_pk_fma_f32 v[6:7], v[32:33], s[0:1], v[6:7] op_sel:[0,0,1] op_sel_hi:[1,0,0] neg_lo:[0,0,1] neg_hi:[0,0,1]
	v_pk_fma_f32 v[132:133], v[72:73], s[2:3], v[130:131] op_sel:[0,0,1] op_sel_hi:[1,0,0]
	v_pk_fma_f32 v[130:131], v[72:73], s[2:3], v[130:131] op_sel:[0,0,1] op_sel_hi:[1,0,0] neg_lo:[0,0,1] neg_hi:[0,0,1]
	v_mov_b32_e32 v134, v132
	v_mov_b32_e32 v135, v131
	v_pk_add_f32 v[116:117], v[134:135], v[116:117]
	v_pk_fma_f32 v[134:135], v[4:5], s[16:17], v[8:9] op_sel:[0,0,1] op_sel_hi:[1,0,0]
	v_pk_fma_f32 v[4:5], v[4:5], s[16:17], v[8:9] op_sel:[0,0,1] op_sel_hi:[1,0,0] neg_lo:[0,0,1] neg_hi:[0,0,1]
	v_mov_b32_e32 v8, v134
	v_mov_b32_e32 v9, v5
	v_pk_add_f32 v[8:9], v[0:1], v[8:9]
	v_mov_b32_e32 v32, v136
	v_mov_b32_e32 v33, v7
	v_pk_mul_f32 v[10:11], v[10:11], s[14:15] op_sel_hi:[1,0]
	v_pk_add_f32 v[8:9], v[32:33], v[8:9]
	v_pk_fma_f32 v[32:33], v[38:39], s[12:13], v[10:11] op_sel:[0,0,1] op_sel_hi:[1,0,0]
	v_pk_fma_f32 v[10:11], v[38:39], s[12:13], v[10:11] op_sel:[0,0,1] op_sel_hi:[1,0,0] neg_lo:[0,0,1] neg_hi:[0,0,1]
	v_mov_b32_e32 v5, v135
	v_mov_b32_e32 v38, v32
	;; [unrolled: 1-line block ×3, first 2 shown]
	v_pk_mul_f32 v[14:15], v[14:15], s[20:21] op_sel_hi:[1,0]
	v_pk_add_f32 v[4:5], v[0:1], v[4:5]
	v_mov_b32_e32 v7, v137
	v_mov_b32_e32 v77, v99
	v_pk_add_f32 v[8:9], v[38:39], v[8:9]
	v_pk_fma_f32 v[38:39], v[42:43], s[2:3], v[14:15] op_sel:[0,0,1] op_sel_hi:[1,0,0]
	v_pk_fma_f32 v[14:15], v[42:43], s[2:3], v[14:15] op_sel:[0,0,1] op_sel_hi:[1,0,0] neg_lo:[0,0,1] neg_hi:[0,0,1]
	v_pk_add_f32 v[4:5], v[6:7], v[4:5]
	v_pk_add_f32 v[6:7], v[0:1], v[76:77]
	v_mov_b32_e32 v119, v121
	v_mov_b32_e32 v42, v38
	;; [unrolled: 1-line block ×3, first 2 shown]
	v_pk_mul_f32 v[12:13], v[12:13], s[8:9] op_sel_hi:[1,0]
	v_mov_b32_e32 v11, v33
	v_pk_add_f32 v[6:7], v[118:119], v[6:7]
	v_mov_b32_e32 v123, v125
	v_pk_add_f32 v[8:9], v[42:43], v[8:9]
	v_pk_fma_f32 v[42:43], v[72:73], s[6:7], v[12:13] op_sel:[0,0,1] op_sel_hi:[1,0,0]
	v_pk_fma_f32 v[12:13], v[72:73], s[6:7], v[12:13] op_sel:[0,0,1] op_sel_hi:[1,0,0] neg_lo:[0,0,1] neg_hi:[0,0,1]
	v_pk_add_f32 v[4:5], v[10:11], v[4:5]
	v_mov_b32_e32 v15, v39
	v_pk_add_f32 v[6:7], v[122:123], v[6:7]
	v_mov_b32_e32 v127, v129
	v_mov_b32_e32 v73, v13
	v_pk_add_f32 v[4:5], v[14:15], v[4:5]
	v_mov_b32_e32 v13, v43
	v_pk_add_f32 v[6:7], v[126:127], v[6:7]
	;; [unrolled: 2-line block ×3, first 2 shown]
	v_pk_add_f32 v[6:7], v[130:131], v[6:7]
	v_mov_b32_e32 v95, v97
	v_mov_b32_e32 v3, v31
	;; [unrolled: 1-line block ×3, first 2 shown]
	ds_write2_b64 v55, v[4:5], v[6:7] offset0:132 offset1:154
	v_pk_add_f32 v[4:5], v[0:1], v[94:95]
	v_mov_b32_e32 v101, v103
	v_pk_add_f32 v[2:3], v[0:1], v[2:3]
	v_mov_b32_e32 v79, v81
	;; [unrolled: 2-line block ×9, first 2 shown]
	v_mov_b32_e32 v72, v42
	v_pk_add_f32 v[4:5], v[108:109], v[4:5]
	v_mov_b32_e32 v113, v115
	v_pk_add_f32 v[2:3], v[86:87], v[2:3]
	;; [unrolled: 2-line block ×4, first 2 shown]
	v_pk_add_f32 v[4:5], v[112:113], v[4:5]
	v_pk_add_f32 v[2:3], v[90:91], v[2:3]
	;; [unrolled: 1-line block ×3, first 2 shown]
	ds_write2_b64 v55, v[116:117], v[8:9] offset0:88 offset1:110
	ds_write2_b64 v55, v[4:5], v[2:3] offset0:176 offset1:198
	ds_write_b64 v55, v[0:1] offset:1760
	s_waitcnt lgkmcnt(0)
	s_barrier
	ds_read2_b64 v[0:3], v55 offset1:22
	v_mov_b32_e32 v4, v27
	v_mad_u64_u32 v[4:5], s[0:1], s7, v54, v[4:5]
	v_mov_b32_e32 v27, v4
	s_waitcnt lgkmcnt(0)
	v_mul_f32_e32 v4, v69, v1
	v_fmac_f32_e32 v4, v68, v0
	v_mul_f32_e32 v0, v69, v0
	s_mov_b32 s0, 0x6be69c90
	v_fma_f32 v0, v68, v1, -v0
	v_cvt_f64_f32_e32 v[4:5], v4
	s_mov_b32 s1, 0x3f70ecf5
	v_cvt_f64_f32_e32 v[0:1], v0
	v_mul_f64 v[4:5], v[4:5], s[0:1]
	v_mul_f64 v[0:1], v[0:1], s[0:1]
	v_cvt_f32_f64_e32 v4, v[4:5]
	v_cvt_f32_f64_e32 v5, v[0:1]
	v_mad_u64_u32 v[0:1], s[2:3], s4, v48, 0
	v_mov_b32_e32 v6, v1
	v_mad_u64_u32 v[6:7], s[2:3], s5, v48, v[6:7]
	v_mov_b32_e32 v1, v6
	v_lshl_add_u64 v[6:7], v[26:27], 3, v[24:25]
	v_lshl_add_u64 v[6:7], v[0:1], 3, v[6:7]
	v_mul_f32_e32 v0, v67, v3
	v_fmac_f32_e32 v0, v66, v2
	v_cvt_f64_f32_e32 v[0:1], v0
	v_mul_f64 v[0:1], v[0:1], s[0:1]
	global_store_dwordx2 v[6:7], v[4:5], off
	v_cvt_f32_f64_e32 v4, v[0:1]
	v_mul_f32_e32 v0, v67, v2
	v_fma_f32 v0, v66, v3, -v0
	v_cvt_f64_f32_e32 v[0:1], v0
	v_mul_f64 v[0:1], v[0:1], s[0:1]
	v_cvt_f32_f64_e32 v5, v[0:1]
	ds_read2_b64 v[0:3], v55 offset0:44 offset1:66
	v_mov_b32_e32 v8, 0xb0
	v_mad_u64_u32 v[6:7], s[2:3], s4, v8, v[6:7]
	s_mulk_i32 s5, 0xb0
	v_add_u32_e32 v7, s5, v7
	global_store_dwordx2 v[6:7], v[4:5], off
	s_waitcnt lgkmcnt(0)
	v_mul_f32_e32 v4, v65, v1
	v_fmac_f32_e32 v4, v64, v0
	v_mul_f32_e32 v0, v65, v0
	v_fma_f32 v0, v64, v1, -v0
	v_cvt_f64_f32_e32 v[4:5], v4
	v_cvt_f64_f32_e32 v[0:1], v0
	v_mul_f64 v[4:5], v[4:5], s[0:1]
	v_mul_f64 v[0:1], v[0:1], s[0:1]
	v_cvt_f32_f64_e32 v4, v[4:5]
	v_cvt_f32_f64_e32 v5, v[0:1]
	v_mul_f32_e32 v0, v59, v3
	v_fmac_f32_e32 v0, v58, v2
	v_mad_u64_u32 v[6:7], s[2:3], s4, v8, v[6:7]
	v_cvt_f64_f32_e32 v[0:1], v0
	v_add_u32_e32 v7, s5, v7
	v_mul_f64 v[0:1], v[0:1], s[0:1]
	global_store_dwordx2 v[6:7], v[4:5], off
	v_cvt_f32_f64_e32 v4, v[0:1]
	v_mul_f32_e32 v0, v59, v2
	v_fma_f32 v0, v58, v3, -v0
	v_cvt_f64_f32_e32 v[0:1], v0
	v_mul_f64 v[0:1], v[0:1], s[0:1]
	v_cvt_f32_f64_e32 v5, v[0:1]
	ds_read2_b64 v[0:3], v55 offset0:88 offset1:110
	v_mad_u64_u32 v[6:7], s[2:3], s4, v8, v[6:7]
	v_add_u32_e32 v7, s5, v7
	global_store_dwordx2 v[6:7], v[4:5], off
	s_waitcnt lgkmcnt(0)
	v_mul_f32_e32 v4, v63, v1
	v_fmac_f32_e32 v4, v62, v0
	v_mul_f32_e32 v0, v63, v0
	v_fma_f32 v0, v62, v1, -v0
	v_cvt_f64_f32_e32 v[4:5], v4
	v_cvt_f64_f32_e32 v[0:1], v0
	v_mul_f64 v[4:5], v[4:5], s[0:1]
	v_mul_f64 v[0:1], v[0:1], s[0:1]
	v_cvt_f32_f64_e32 v4, v[4:5]
	v_cvt_f32_f64_e32 v5, v[0:1]
	v_mul_f32_e32 v0, v61, v3
	v_fmac_f32_e32 v0, v60, v2
	v_mad_u64_u32 v[6:7], s[2:3], s4, v8, v[6:7]
	v_cvt_f64_f32_e32 v[0:1], v0
	v_add_u32_e32 v7, s5, v7
	v_mul_f64 v[0:1], v[0:1], s[0:1]
	global_store_dwordx2 v[6:7], v[4:5], off
	v_cvt_f32_f64_e32 v4, v[0:1]
	v_mul_f32_e32 v0, v61, v2
	v_fma_f32 v0, v60, v3, -v0
	v_cvt_f64_f32_e32 v[0:1], v0
	v_mul_f64 v[0:1], v[0:1], s[0:1]
	v_cvt_f32_f64_e32 v5, v[0:1]
	ds_read2_b64 v[0:3], v55 offset0:132 offset1:154
	v_mad_u64_u32 v[6:7], s[2:3], s4, v8, v[6:7]
	v_add_u32_e32 v7, s5, v7
	global_store_dwordx2 v[6:7], v[4:5], off
	s_waitcnt lgkmcnt(0)
	v_mul_f32_e32 v4, v57, v1
	v_fmac_f32_e32 v4, v56, v0
	v_mul_f32_e32 v0, v57, v0
	v_fma_f32 v0, v56, v1, -v0
	v_cvt_f64_f32_e32 v[4:5], v4
	v_cvt_f64_f32_e32 v[0:1], v0
	v_mul_f64 v[4:5], v[4:5], s[0:1]
	v_mul_f64 v[0:1], v[0:1], s[0:1]
	v_cvt_f32_f64_e32 v4, v[4:5]
	v_cvt_f32_f64_e32 v5, v[0:1]
	v_mul_f32_e32 v0, v53, v3
	v_fmac_f32_e32 v0, v52, v2
	v_mad_u64_u32 v[6:7], s[2:3], s4, v8, v[6:7]
	v_cvt_f64_f32_e32 v[0:1], v0
	v_add_u32_e32 v7, s5, v7
	v_mul_f64 v[0:1], v[0:1], s[0:1]
	global_store_dwordx2 v[6:7], v[4:5], off
	v_cvt_f32_f64_e32 v4, v[0:1]
	v_mul_f32_e32 v0, v53, v2
	v_fma_f32 v0, v52, v3, -v0
	v_cvt_f64_f32_e32 v[0:1], v0
	v_mul_f64 v[0:1], v[0:1], s[0:1]
	v_cvt_f32_f64_e32 v5, v[0:1]
	ds_read2_b64 v[0:3], v55 offset0:176 offset1:198
	v_mad_u64_u32 v[6:7], s[2:3], s4, v8, v[6:7]
	v_add_u32_e32 v7, s5, v7
	global_store_dwordx2 v[6:7], v[4:5], off
	s_waitcnt lgkmcnt(0)
	v_mul_f32_e32 v4, v51, v1
	v_fmac_f32_e32 v4, v50, v0
	v_mul_f32_e32 v0, v51, v0
	v_fma_f32 v0, v50, v1, -v0
	v_cvt_f64_f32_e32 v[4:5], v4
	v_cvt_f64_f32_e32 v[0:1], v0
	v_mul_f64 v[4:5], v[4:5], s[0:1]
	v_mul_f64 v[0:1], v[0:1], s[0:1]
	v_cvt_f32_f64_e32 v4, v[4:5]
	v_cvt_f32_f64_e32 v5, v[0:1]
	v_mad_u64_u32 v[0:1], s[2:3], s4, v8, v[6:7]
	v_add_u32_e32 v1, s5, v1
	global_store_dwordx2 v[0:1], v[4:5], off
	v_mul_f32_e32 v4, v47, v3
	v_fmac_f32_e32 v4, v46, v2
	v_mul_f32_e32 v2, v47, v2
	v_fma_f32 v2, v46, v3, -v2
	v_cvt_f64_f32_e32 v[4:5], v4
	v_cvt_f64_f32_e32 v[2:3], v2
	v_mul_f64 v[4:5], v[4:5], s[0:1]
	v_mul_f64 v[2:3], v[2:3], s[0:1]
	v_cvt_f32_f64_e32 v4, v[4:5]
	v_cvt_f32_f64_e32 v5, v[2:3]
	ds_read_b64 v[2:3], v55 offset:1760
	v_mad_u64_u32 v[0:1], s[2:3], s4, v8, v[0:1]
	v_add_u32_e32 v1, s5, v1
	global_store_dwordx2 v[0:1], v[4:5], off
	s_waitcnt lgkmcnt(0)
	v_mul_f32_e32 v4, v45, v3
	v_fmac_f32_e32 v4, v44, v2
	v_mul_f32_e32 v2, v45, v2
	v_fma_f32 v2, v44, v3, -v2
	v_cvt_f64_f32_e32 v[4:5], v4
	v_cvt_f64_f32_e32 v[2:3], v2
	v_mul_f64 v[4:5], v[4:5], s[0:1]
	v_mul_f64 v[2:3], v[2:3], s[0:1]
	v_mad_u64_u32 v[0:1], s[0:1], s4, v8, v[0:1]
	v_cvt_f32_f64_e32 v4, v[4:5]
	v_cvt_f32_f64_e32 v5, v[2:3]
	v_add_u32_e32 v1, s5, v1
	global_store_dwordx2 v[0:1], v[4:5], off
.LBB0_10:
	s_endpgm
	.section	.rodata,"a",@progbits
	.p2align	6, 0x0
	.amdhsa_kernel bluestein_single_fwd_len242_dim1_sp_op_CI_CI
		.amdhsa_group_segment_fixed_size 9680
		.amdhsa_private_segment_fixed_size 0
		.amdhsa_kernarg_size 104
		.amdhsa_user_sgpr_count 2
		.amdhsa_user_sgpr_dispatch_ptr 0
		.amdhsa_user_sgpr_queue_ptr 0
		.amdhsa_user_sgpr_kernarg_segment_ptr 1
		.amdhsa_user_sgpr_dispatch_id 0
		.amdhsa_user_sgpr_kernarg_preload_length 0
		.amdhsa_user_sgpr_kernarg_preload_offset 0
		.amdhsa_user_sgpr_private_segment_size 0
		.amdhsa_uses_dynamic_stack 0
		.amdhsa_enable_private_segment 0
		.amdhsa_system_sgpr_workgroup_id_x 1
		.amdhsa_system_sgpr_workgroup_id_y 0
		.amdhsa_system_sgpr_workgroup_id_z 0
		.amdhsa_system_sgpr_workgroup_info 0
		.amdhsa_system_vgpr_workitem_id 0
		.amdhsa_next_free_vgpr 198
		.amdhsa_next_free_sgpr 44
		.amdhsa_accum_offset 200
		.amdhsa_reserve_vcc 1
		.amdhsa_float_round_mode_32 0
		.amdhsa_float_round_mode_16_64 0
		.amdhsa_float_denorm_mode_32 3
		.amdhsa_float_denorm_mode_16_64 3
		.amdhsa_dx10_clamp 1
		.amdhsa_ieee_mode 1
		.amdhsa_fp16_overflow 0
		.amdhsa_tg_split 0
		.amdhsa_exception_fp_ieee_invalid_op 0
		.amdhsa_exception_fp_denorm_src 0
		.amdhsa_exception_fp_ieee_div_zero 0
		.amdhsa_exception_fp_ieee_overflow 0
		.amdhsa_exception_fp_ieee_underflow 0
		.amdhsa_exception_fp_ieee_inexact 0
		.amdhsa_exception_int_div_zero 0
	.end_amdhsa_kernel
	.text
.Lfunc_end0:
	.size	bluestein_single_fwd_len242_dim1_sp_op_CI_CI, .Lfunc_end0-bluestein_single_fwd_len242_dim1_sp_op_CI_CI
                                        ; -- End function
	.section	.AMDGPU.csdata,"",@progbits
; Kernel info:
; codeLenInByte = 11656
; NumSgprs: 50
; NumVgprs: 198
; NumAgprs: 0
; TotalNumVgprs: 198
; ScratchSize: 0
; MemoryBound: 0
; FloatMode: 240
; IeeeMode: 1
; LDSByteSize: 9680 bytes/workgroup (compile time only)
; SGPRBlocks: 6
; VGPRBlocks: 24
; NumSGPRsForWavesPerEU: 50
; NumVGPRsForWavesPerEU: 198
; AccumOffset: 200
; Occupancy: 2
; WaveLimiterHint : 1
; COMPUTE_PGM_RSRC2:SCRATCH_EN: 0
; COMPUTE_PGM_RSRC2:USER_SGPR: 2
; COMPUTE_PGM_RSRC2:TRAP_HANDLER: 0
; COMPUTE_PGM_RSRC2:TGID_X_EN: 1
; COMPUTE_PGM_RSRC2:TGID_Y_EN: 0
; COMPUTE_PGM_RSRC2:TGID_Z_EN: 0
; COMPUTE_PGM_RSRC2:TIDIG_COMP_CNT: 0
; COMPUTE_PGM_RSRC3_GFX90A:ACCUM_OFFSET: 49
; COMPUTE_PGM_RSRC3_GFX90A:TG_SPLIT: 0
	.text
	.p2alignl 6, 3212836864
	.fill 256, 4, 3212836864
	.type	__hip_cuid_62f870904d94bb1d,@object ; @__hip_cuid_62f870904d94bb1d
	.section	.bss,"aw",@nobits
	.globl	__hip_cuid_62f870904d94bb1d
__hip_cuid_62f870904d94bb1d:
	.byte	0                               ; 0x0
	.size	__hip_cuid_62f870904d94bb1d, 1

	.ident	"AMD clang version 19.0.0git (https://github.com/RadeonOpenCompute/llvm-project roc-6.4.0 25133 c7fe45cf4b819c5991fe208aaa96edf142730f1d)"
	.section	".note.GNU-stack","",@progbits
	.addrsig
	.addrsig_sym __hip_cuid_62f870904d94bb1d
	.amdgpu_metadata
---
amdhsa.kernels:
  - .agpr_count:     0
    .args:
      - .actual_access:  read_only
        .address_space:  global
        .offset:         0
        .size:           8
        .value_kind:     global_buffer
      - .actual_access:  read_only
        .address_space:  global
        .offset:         8
        .size:           8
        .value_kind:     global_buffer
      - .actual_access:  read_only
        .address_space:  global
        .offset:         16
        .size:           8
        .value_kind:     global_buffer
      - .actual_access:  read_only
        .address_space:  global
        .offset:         24
        .size:           8
        .value_kind:     global_buffer
      - .actual_access:  read_only
        .address_space:  global
        .offset:         32
        .size:           8
        .value_kind:     global_buffer
      - .offset:         40
        .size:           8
        .value_kind:     by_value
      - .address_space:  global
        .offset:         48
        .size:           8
        .value_kind:     global_buffer
      - .address_space:  global
        .offset:         56
        .size:           8
        .value_kind:     global_buffer
      - .address_space:  global
        .offset:         64
        .size:           8
        .value_kind:     global_buffer
      - .address_space:  global
        .offset:         72
        .size:           8
        .value_kind:     global_buffer
      - .offset:         80
        .size:           4
        .value_kind:     by_value
      - .address_space:  global
        .offset:         88
        .size:           8
        .value_kind:     global_buffer
      - .address_space:  global
        .offset:         96
        .size:           8
        .value_kind:     global_buffer
    .group_segment_fixed_size: 9680
    .kernarg_segment_align: 8
    .kernarg_segment_size: 104
    .language:       OpenCL C
    .language_version:
      - 2
      - 0
    .max_flat_workgroup_size: 110
    .name:           bluestein_single_fwd_len242_dim1_sp_op_CI_CI
    .private_segment_fixed_size: 0
    .sgpr_count:     50
    .sgpr_spill_count: 0
    .symbol:         bluestein_single_fwd_len242_dim1_sp_op_CI_CI.kd
    .uniform_work_group_size: 1
    .uses_dynamic_stack: false
    .vgpr_count:     198
    .vgpr_spill_count: 0
    .wavefront_size: 64
amdhsa.target:   amdgcn-amd-amdhsa--gfx950
amdhsa.version:
  - 1
  - 2
...

	.end_amdgpu_metadata
